;; amdgpu-corpus repo=ROCm/rocFFT kind=compiled arch=gfx1030 opt=O3
	.text
	.amdgcn_target "amdgcn-amd-amdhsa--gfx1030"
	.amdhsa_code_object_version 6
	.protected	fft_rtc_fwd_len160_factors_4_10_4_wgs_192_tpt_16_half_op_CI_CI_sbcc_twdbase8_3step_dirReg ; -- Begin function fft_rtc_fwd_len160_factors_4_10_4_wgs_192_tpt_16_half_op_CI_CI_sbcc_twdbase8_3step_dirReg
	.globl	fft_rtc_fwd_len160_factors_4_10_4_wgs_192_tpt_16_half_op_CI_CI_sbcc_twdbase8_3step_dirReg
	.p2align	8
	.type	fft_rtc_fwd_len160_factors_4_10_4_wgs_192_tpt_16_half_op_CI_CI_sbcc_twdbase8_3step_dirReg,@function
fft_rtc_fwd_len160_factors_4_10_4_wgs_192_tpt_16_half_op_CI_CI_sbcc_twdbase8_3step_dirReg: ; @fft_rtc_fwd_len160_factors_4_10_4_wgs_192_tpt_16_half_op_CI_CI_sbcc_twdbase8_3step_dirReg
; %bb.0:
	s_clause 0x1
	s_load_dwordx4 s[0:3], s[4:5], 0x18
	s_load_dwordx2 s[30:31], s[4:5], 0x28
	s_mov_b64 s[26:27], 0
	s_waitcnt lgkmcnt(0)
	s_load_dwordx2 s[24:25], s[0:1], 0x8
	s_waitcnt lgkmcnt(0)
	s_add_u32 s7, s24, -1
	s_addc_u32 s8, s25, -1
	s_add_u32 s9, 0, 0x55540000
	s_addc_u32 s10, 0, 0x55
	s_mul_hi_u32 s12, s9, -12
	s_add_i32 s10, s10, 0x15555500
	s_sub_i32 s12, s12, s9
	s_mul_i32 s14, s10, -12
	s_mul_i32 s11, s9, -12
	s_add_i32 s12, s12, s14
	s_mul_hi_u32 s13, s9, s11
	s_mul_i32 s16, s9, s12
	s_mul_hi_u32 s14, s9, s12
	s_mul_hi_u32 s15, s10, s11
	s_mul_i32 s11, s10, s11
	s_add_u32 s13, s13, s16
	s_addc_u32 s14, 0, s14
	s_mul_hi_u32 s17, s10, s12
	s_add_u32 s11, s13, s11
	s_mul_i32 s12, s10, s12
	s_addc_u32 s11, s14, s15
	s_addc_u32 s13, s17, 0
	s_add_u32 s11, s11, s12
	v_add_co_u32 v1, s9, s9, s11
	s_addc_u32 s11, 0, s13
	s_cmp_lg_u32 s9, 0
	s_addc_u32 s9, s10, s11
	v_readfirstlane_b32 s10, v1
	s_mul_i32 s12, s7, s9
	s_mul_hi_u32 s11, s7, s9
	s_mul_hi_u32 s13, s8, s9
	s_mul_i32 s9, s8, s9
	s_mul_hi_u32 s14, s7, s10
	s_mul_hi_u32 s15, s8, s10
	s_mul_i32 s10, s8, s10
	s_add_u32 s12, s14, s12
	s_addc_u32 s11, 0, s11
	s_add_u32 s10, s12, s10
	s_addc_u32 s10, s11, s15
	s_addc_u32 s11, s13, 0
	s_add_u32 s9, s10, s9
	s_addc_u32 s10, 0, s11
	s_mul_i32 s12, s9, 12
	s_add_u32 s11, s9, 1
	v_sub_co_u32 v1, s7, s7, s12
	s_mul_hi_u32 s12, s9, 12
	s_addc_u32 s13, s10, 0
	s_mul_i32 s14, s10, 12
	v_sub_co_u32 v2, s15, v1, 12
	s_add_u32 s16, s9, 2
	s_addc_u32 s17, s10, 0
	s_add_i32 s12, s12, s14
	s_cmp_lg_u32 s7, 0
	v_readfirstlane_b32 s7, v2
	s_subb_u32 s8, s8, s12
	s_cmp_lg_u32 s15, 0
	s_subb_u32 s12, s8, 0
	s_cmp_gt_u32 s7, 11
	s_cselect_b32 s7, -1, 0
	s_cmp_eq_u32 s12, 0
	v_readfirstlane_b32 s12, v1
	s_cselect_b32 s7, s7, -1
	s_cmp_lg_u32 s7, 0
	s_cselect_b32 s11, s16, s11
	s_cselect_b32 s13, s17, s13
	s_cmp_gt_u32 s12, 11
	s_cselect_b32 s7, -1, 0
	s_cmp_eq_u32 s8, 0
	s_cselect_b32 s7, s7, -1
	s_cmp_lg_u32 s7, 0
	s_mov_b32 s7, 0
	s_cselect_b32 s8, s11, s9
	s_cselect_b32 s9, s13, s10
	s_add_u32 s34, s8, 1
	s_addc_u32 s35, s9, 0
	v_cmp_lt_u64_e64 s8, s[6:7], s[34:35]
	s_and_b32 vcc_lo, exec_lo, s8
	s_cbranch_vccnz .LBB0_2
; %bb.1:
	v_cvt_f32_u32_e32 v1, s34
	s_sub_i32 s9, 0, s34
	s_mov_b32 s27, s7
	v_rcp_iflag_f32_e32 v1, v1
	v_mul_f32_e32 v1, 0x4f7ffffe, v1
	v_cvt_u32_f32_e32 v1, v1
	v_readfirstlane_b32 s8, v1
	s_mul_i32 s9, s9, s8
	s_mul_hi_u32 s9, s8, s9
	s_add_i32 s8, s8, s9
	s_mul_hi_u32 s8, s6, s8
	s_mul_i32 s9, s8, s34
	s_add_i32 s10, s8, 1
	s_sub_i32 s9, s6, s9
	s_sub_i32 s11, s9, s34
	s_cmp_ge_u32 s9, s34
	s_cselect_b32 s8, s10, s8
	s_cselect_b32 s9, s11, s9
	s_add_i32 s10, s8, 1
	s_cmp_ge_u32 s9, s34
	s_cselect_b32 s26, s10, s8
.LBB0_2:
	s_load_dwordx4 s[20:23], s[2:3], 0x0
	s_load_dwordx4 s[8:11], s[30:31], 0x0
	s_clause 0x1
	s_load_dwordx4 s[16:19], s[4:5], 0x8
	s_load_dwordx2 s[28:29], s[4:5], 0x0
	s_mul_i32 s12, s26, s35
	s_mul_hi_u32 s13, s26, s34
	s_mul_i32 s14, s26, s34
	s_add_i32 s13, s13, s12
	s_sub_u32 s48, s6, s14
	s_subb_u32 s12, 0, s13
	s_mul_hi_u32 s47, s48, 12
	s_mul_i32 s33, s12, 12
	s_load_dwordx4 s[12:15], s[4:5], 0x60
	s_add_i32 s47, s47, s33
	s_mul_i32 s48, s48, 12
	s_waitcnt lgkmcnt(0)
	s_mul_i32 s4, s22, s47
	s_mul_hi_u32 s5, s22, s48
	v_cmp_lt_u64_e64 s39, s[18:19], 3
	s_mul_i32 s36, s10, s47
	s_mul_hi_u32 s37, s10, s48
	s_mul_i32 s33, s23, s48
	s_mul_i32 s38, s11, s48
	s_add_i32 s4, s5, s4
	s_add_i32 s5, s37, s36
	;; [unrolled: 1-line block ×3, first 2 shown]
	s_mul_i32 s50, s22, s48
	s_add_i32 s33, s5, s38
	s_and_b32 vcc_lo, exec_lo, s39
	s_mul_i32 s46, s10, s48
	s_cbranch_vccnz .LBB0_12
; %bb.3:
	s_add_u32 s4, s30, 16
	s_addc_u32 s5, s31, 0
	s_add_u32 s36, s2, 16
	s_addc_u32 s37, s3, 0
	;; [unrolled: 2-line block ×3, first 2 shown]
	s_mov_b64 s[38:39], 2
	s_mov_b32 s40, 0
.LBB0_4:                                ; =>This Inner Loop Header: Depth=1
	s_load_dwordx2 s[42:43], s[0:1], 0x0
	s_waitcnt lgkmcnt(0)
	s_or_b64 s[44:45], s[26:27], s[42:43]
	s_mov_b32 s41, s45
                                        ; implicit-def: $sgpr44_sgpr45
	s_cmp_lg_u64 s[40:41], 0
	s_mov_b32 s41, -1
	s_cbranch_scc0 .LBB0_6
; %bb.5:                                ;   in Loop: Header=BB0_4 Depth=1
	v_cvt_f32_u32_e32 v1, s42
	v_cvt_f32_u32_e32 v2, s43
	s_sub_u32 s45, 0, s42
	s_subb_u32 s51, 0, s43
	v_fmac_f32_e32 v1, 0x4f800000, v2
	v_rcp_f32_e32 v1, v1
	v_mul_f32_e32 v1, 0x5f7ffffc, v1
	v_mul_f32_e32 v2, 0x2f800000, v1
	v_trunc_f32_e32 v2, v2
	v_fmac_f32_e32 v1, 0xcf800000, v2
	v_cvt_u32_f32_e32 v2, v2
	v_cvt_u32_f32_e32 v1, v1
	v_readfirstlane_b32 s41, v2
	v_readfirstlane_b32 s44, v1
	s_mul_i32 s52, s45, s41
	s_mul_hi_u32 s54, s45, s44
	s_mul_i32 s53, s51, s44
	s_add_i32 s52, s54, s52
	s_mul_i32 s55, s45, s44
	s_add_i32 s52, s52, s53
	s_mul_hi_u32 s54, s44, s55
	s_mul_hi_u32 s56, s41, s55
	s_mul_i32 s53, s41, s55
	s_mul_hi_u32 s55, s44, s52
	s_mul_i32 s44, s44, s52
	s_mul_hi_u32 s57, s41, s52
	s_add_u32 s44, s54, s44
	s_addc_u32 s54, 0, s55
	s_add_u32 s44, s44, s53
	s_mul_i32 s52, s41, s52
	s_addc_u32 s44, s54, s56
	s_addc_u32 s53, s57, 0
	s_add_u32 s44, s44, s52
	s_addc_u32 s52, 0, s53
	v_add_co_u32 v1, s44, v1, s44
	s_cmp_lg_u32 s44, 0
	s_addc_u32 s41, s41, s52
	v_readfirstlane_b32 s44, v1
	s_mul_i32 s52, s45, s41
	s_mul_hi_u32 s53, s45, s44
	s_mul_i32 s51, s51, s44
	s_add_i32 s52, s53, s52
	s_mul_i32 s45, s45, s44
	s_add_i32 s52, s52, s51
	s_mul_hi_u32 s53, s41, s45
	s_mul_i32 s54, s41, s45
	s_mul_hi_u32 s45, s44, s45
	s_mul_hi_u32 s55, s44, s52
	s_mul_i32 s44, s44, s52
	s_mul_hi_u32 s51, s41, s52
	s_add_u32 s44, s45, s44
	s_addc_u32 s45, 0, s55
	s_add_u32 s44, s44, s54
	s_mul_i32 s52, s41, s52
	s_addc_u32 s44, s45, s53
	s_addc_u32 s45, s51, 0
	s_add_u32 s44, s44, s52
	s_addc_u32 s45, 0, s45
	v_add_co_u32 v1, s44, v1, s44
	s_cmp_lg_u32 s44, 0
	s_addc_u32 s41, s41, s45
	v_readfirstlane_b32 s44, v1
	s_mul_i32 s51, s26, s41
	s_mul_hi_u32 s45, s26, s41
	s_mul_hi_u32 s52, s27, s41
	s_mul_i32 s41, s27, s41
	s_mul_hi_u32 s53, s26, s44
	s_mul_hi_u32 s54, s27, s44
	s_mul_i32 s44, s27, s44
	s_add_u32 s51, s53, s51
	s_addc_u32 s45, 0, s45
	s_add_u32 s44, s51, s44
	s_addc_u32 s44, s45, s54
	s_addc_u32 s45, s52, 0
	s_add_u32 s44, s44, s41
	s_addc_u32 s45, 0, s45
	s_mul_hi_u32 s41, s42, s44
	s_mul_i32 s52, s42, s45
	s_mul_i32 s53, s42, s44
	s_add_i32 s41, s41, s52
	v_sub_co_u32 v1, s52, s26, s53
	s_mul_i32 s51, s43, s44
	s_add_i32 s41, s41, s51
	v_sub_co_u32 v2, s53, v1, s42
	s_sub_i32 s51, s27, s41
	s_cmp_lg_u32 s52, 0
	s_subb_u32 s51, s51, s43
	s_cmp_lg_u32 s53, 0
	v_readfirstlane_b32 s53, v2
	s_subb_u32 s51, s51, 0
	s_cmp_ge_u32 s51, s43
	s_cselect_b32 s54, -1, 0
	s_cmp_ge_u32 s53, s42
	s_cselect_b32 s53, -1, 0
	s_cmp_eq_u32 s51, s43
	s_cselect_b32 s51, s53, s54
	s_add_u32 s53, s44, 1
	s_addc_u32 s54, s45, 0
	s_add_u32 s55, s44, 2
	s_addc_u32 s56, s45, 0
	s_cmp_lg_u32 s51, 0
	s_cselect_b32 s51, s55, s53
	s_cselect_b32 s53, s56, s54
	s_cmp_lg_u32 s52, 0
	v_readfirstlane_b32 s52, v1
	s_subb_u32 s41, s27, s41
	s_cmp_ge_u32 s41, s43
	s_cselect_b32 s54, -1, 0
	s_cmp_ge_u32 s52, s42
	s_cselect_b32 s52, -1, 0
	s_cmp_eq_u32 s41, s43
	s_cselect_b32 s41, s52, s54
	s_cmp_lg_u32 s41, 0
	s_mov_b32 s41, 0
	s_cselect_b32 s45, s53, s45
	s_cselect_b32 s44, s51, s44
.LBB0_6:                                ;   in Loop: Header=BB0_4 Depth=1
	s_andn2_b32 vcc_lo, exec_lo, s41
	s_cbranch_vccnz .LBB0_8
; %bb.7:                                ;   in Loop: Header=BB0_4 Depth=1
	v_cvt_f32_u32_e32 v1, s42
	s_sub_i32 s44, 0, s42
	v_rcp_iflag_f32_e32 v1, v1
	v_mul_f32_e32 v1, 0x4f7ffffe, v1
	v_cvt_u32_f32_e32 v1, v1
	v_readfirstlane_b32 s41, v1
	s_mul_i32 s44, s44, s41
	s_mul_hi_u32 s44, s41, s44
	s_add_i32 s41, s41, s44
	s_mul_hi_u32 s41, s26, s41
	s_mul_i32 s44, s41, s42
	s_add_i32 s45, s41, 1
	s_sub_i32 s44, s26, s44
	s_sub_i32 s51, s44, s42
	s_cmp_ge_u32 s44, s42
	s_cselect_b32 s41, s45, s41
	s_cselect_b32 s44, s51, s44
	s_add_i32 s45, s41, 1
	s_cmp_ge_u32 s44, s42
	s_cselect_b32 s44, s45, s41
	s_mov_b32 s45, s40
.LBB0_8:                                ;   in Loop: Header=BB0_4 Depth=1
	s_load_dwordx2 s[52:53], s[36:37], 0x0
	s_load_dwordx2 s[54:55], s[4:5], 0x0
	s_mul_i32 s35, s42, s35
	s_mul_hi_u32 s41, s42, s34
	s_mul_i32 s51, s43, s34
	s_mul_i32 s43, s44, s43
	s_mul_hi_u32 s56, s44, s42
	s_mul_i32 s57, s45, s42
	s_add_i32 s35, s41, s35
	s_add_i32 s41, s56, s43
	s_mul_i32 s58, s44, s42
	s_add_i32 s35, s35, s51
	s_add_i32 s41, s41, s57
	s_sub_u32 s26, s26, s58
	s_subb_u32 s27, s27, s41
	s_mul_i32 s34, s42, s34
	s_waitcnt lgkmcnt(0)
	s_mul_i32 s41, s52, s27
	s_mul_hi_u32 s43, s52, s26
	s_mul_i32 s51, s53, s26
	s_add_i32 s41, s43, s41
	s_mul_i32 s52, s52, s26
	s_mul_i32 s27, s54, s27
	s_mul_hi_u32 s43, s54, s26
	s_add_i32 s41, s41, s51
	s_add_u32 s50, s52, s50
	s_addc_u32 s49, s41, s49
	s_add_i32 s27, s43, s27
	s_mul_i32 s41, s55, s26
	s_mul_i32 s26, s54, s26
	s_add_i32 s27, s27, s41
	s_add_u32 s46, s26, s46
	s_addc_u32 s33, s27, s33
	s_add_u32 s38, s38, 1
	s_addc_u32 s39, s39, 0
	s_add_u32 s4, s4, 8
	v_cmp_ge_u64_e64 s26, s[38:39], s[18:19]
	s_addc_u32 s5, s5, 0
	s_add_u32 s36, s36, 8
	s_addc_u32 s37, s37, 0
	s_add_u32 s0, s0, 8
	s_addc_u32 s1, s1, 0
	s_and_b32 vcc_lo, exec_lo, s26
	s_cbranch_vccnz .LBB0_10
; %bb.9:                                ;   in Loop: Header=BB0_4 Depth=1
	s_mov_b64 s[26:27], s[44:45]
	s_branch .LBB0_4
.LBB0_10:
	v_cmp_lt_u64_e64 s0, s[6:7], s[34:35]
	s_mov_b64 s[26:27], 0
	s_and_b32 vcc_lo, exec_lo, s0
	s_cbranch_vccnz .LBB0_12
; %bb.11:
	v_cvt_f32_u32_e32 v1, s34
	s_sub_i32 s1, 0, s34
	v_rcp_iflag_f32_e32 v1, v1
	v_mul_f32_e32 v1, 0x4f7ffffe, v1
	v_cvt_u32_f32_e32 v1, v1
	v_readfirstlane_b32 s0, v1
	s_mul_i32 s1, s1, s0
	s_mul_hi_u32 s1, s0, s1
	s_add_i32 s0, s0, s1
	s_mul_hi_u32 s0, s6, s0
	s_mul_i32 s1, s0, s34
	s_add_i32 s4, s0, 1
	s_sub_i32 s1, s6, s1
	s_sub_i32 s5, s1, s34
	s_cmp_ge_u32 s1, s34
	s_cselect_b32 s0, s4, s0
	s_cselect_b32 s1, s5, s1
	s_add_i32 s4, s0, 1
	s_cmp_ge_u32 s1, s34
	s_cselect_b32 s26, s4, s0
.LBB0_12:
	s_lshl_b64 s[0:1], s[18:19], 3
	v_mul_u32_u24_e32 v1, 0x1556, v0
	s_add_u32 s2, s2, s0
	s_addc_u32 s3, s3, s1
	s_load_dwordx2 s[2:3], s[2:3], 0x0
	v_lshrrev_b32_e32 v14, 16, v1
	v_mul_lo_u16 v1, v14, 12
	v_add_nc_u32_e32 v16, 40, v14
	v_add_nc_u32_e32 v17, 0x50, v14
	;; [unrolled: 1-line block ×3, first 2 shown]
	v_sub_nc_u16 v1, v0, v1
	v_and_b32_e32 v18, 0xffff, v1
	v_add_nc_u32_e32 v1, 16, v14
	s_waitcnt lgkmcnt(0)
	s_mul_i32 s3, s3, s26
	s_mul_hi_u32 s4, s2, s26
	s_mul_i32 s2, s2, s26
	s_add_i32 s3, s4, s3
	s_add_u32 s4, s2, s50
	s_addc_u32 s5, s3, s49
	s_add_u32 s0, s30, s0
	s_addc_u32 s1, s31, s1
	s_load_dwordx2 s[2:3], s[0:1], 0x0
	s_add_u32 s0, s48, 12
	s_addc_u32 s1, s47, 0
	v_cmp_le_u64_e64 s1, s[0:1], s[24:25]
	v_add_co_u32 v6, s0, s48, v18
	v_add_co_ci_u32_e64 v7, null, s47, 0, s0
	v_cmp_gt_u32_e64 s0, 0x60, v0
	s_and_b32 vcc_lo, exec_lo, s1
	s_cbranch_vccz .LBB0_16
; %bb.13:
	v_mad_u64_u32 v[2:3], null, s22, v18, 0
	v_mad_u64_u32 v[4:5], null, s20, v14, 0
	;; [unrolled: 1-line block ×4, first 2 shown]
	s_lshl_b64 s[6:7], s[4:5], 2
	v_mad_u64_u32 v[22:23], null, s20, v15, 0
	v_mad_u64_u32 v[10:11], null, s23, v18, v[3:4]
	;; [unrolled: 1-line block ×3, first 2 shown]
	s_add_u32 s6, s12, s6
	s_addc_u32 s7, s13, s7
	v_add_nc_u32_e32 v19, 16, v14
	v_add_nc_u32_e32 v28, 56, v14
	v_mov_b32_e32 v3, v10
	v_mov_b32_e32 v10, v21
	;; [unrolled: 1-line block ×3, first 2 shown]
	v_or_b32_e32 v33, 0x60, v14
	v_add_nc_u32_e32 v34, 0x88, v14
	v_lshlrev_b64 v[2:3], 2, v[2:3]
	v_mad_u64_u32 v[11:12], null, s21, v16, v[9:10]
	v_lshlrev_b64 v[4:5], 2, v[4:5]
	v_mad_u64_u32 v[26:27], null, s20, v33, 0
	v_add_co_u32 v12, vcc_lo, s6, v2
	v_add_co_ci_u32_e32 v13, vcc_lo, s7, v3, vcc_lo
	v_mov_b32_e32 v9, v11
	v_add_co_u32 v2, vcc_lo, v12, v4
	v_mad_u64_u32 v[24:25], null, s21, v17, v[10:11]
	v_add_co_ci_u32_e32 v3, vcc_lo, v13, v5, vcc_lo
	v_lshlrev_b64 v[4:5], 2, v[8:9]
	v_mad_u64_u32 v[9:10], null, s20, v19, 0
	v_mov_b32_e32 v8, v23
	v_mov_b32_e32 v21, v24
	v_add_co_u32 v4, vcc_lo, v12, v4
	v_add_co_ci_u32_e32 v5, vcc_lo, v13, v5, vcc_lo
	v_mad_u64_u32 v[23:24], null, s21, v15, v[8:9]
	v_mad_u64_u32 v[24:25], null, s20, v28, 0
	v_mov_b32_e32 v8, v10
	v_lshlrev_b64 v[10:11], 2, v[20:21]
	v_mad_u64_u32 v[20:21], null, s21, v19, v[8:9]
	v_mov_b32_e32 v8, v25
	v_add_co_u32 v31, vcc_lo, v12, v10
	v_lshlrev_b64 v[21:22], 2, v[22:23]
	v_add_co_ci_u32_e32 v32, vcc_lo, v13, v11, vcc_lo
	v_mad_u64_u32 v[28:29], null, s21, v28, v[8:9]
	v_mad_u64_u32 v[29:30], null, s20, v34, 0
	v_mov_b32_e32 v8, v27
	v_mov_b32_e32 v10, v20
	v_add_co_u32 v20, vcc_lo, v12, v21
	v_mov_b32_e32 v25, v28
	v_mad_u64_u32 v[27:28], null, s21, v33, v[8:9]
	v_lshlrev_b64 v[9:10], 2, v[9:10]
	v_mov_b32_e32 v8, v30
	v_add_co_ci_u32_e32 v21, vcc_lo, v13, v22, vcc_lo
	v_mad_u64_u32 v[22:23], null, s21, v34, v[8:9]
	v_lshlrev_b64 v[23:24], 2, v[24:25]
	v_add_co_u32 v33, vcc_lo, v12, v9
	v_lshlrev_b64 v[8:9], 2, v[26:27]
	v_add_co_ci_u32_e32 v34, vcc_lo, v13, v10, vcc_lo
	v_mov_b32_e32 v30, v22
	v_add_co_u32 v22, vcc_lo, v12, v23
	v_add_co_ci_u32_e32 v23, vcc_lo, v13, v24, vcc_lo
	v_lshlrev_b64 v[10:11], 2, v[29:30]
	v_add_co_u32 v24, vcc_lo, v12, v8
	v_add_co_ci_u32_e32 v25, vcc_lo, v13, v9, vcc_lo
	v_add_co_u32 v26, vcc_lo, v12, v10
	v_add_co_ci_u32_e32 v27, vcc_lo, v13, v11, vcc_lo
	s_clause 0x7
	global_load_dword v8, v[2:3], off
	global_load_dword v3, v[4:5], off
	;; [unrolled: 1-line block ×8, first 2 shown]
                                        ; implicit-def: $vgpr22
                                        ; implicit-def: $vgpr20
                                        ; implicit-def: $vgpr23
                                        ; implicit-def: $vgpr21
	s_and_saveexec_b32 s6, s0
	s_cbranch_execz .LBB0_15
; %bb.14:
	v_or_b32_e32 v28, 32, v14
	v_add_nc_u32_e32 v30, 0x48, v14
	v_or_b32_e32 v31, 0x70, v14
	v_add_nc_u32_e32 v32, 0x98, v14
	v_mad_u64_u32 v[20:21], null, s20, v28, 0
	v_mad_u64_u32 v[22:23], null, s20, v30, 0
	;; [unrolled: 1-line block ×7, first 2 shown]
	v_mov_b32_e32 v21, v28
	v_mad_u64_u32 v[31:32], null, s21, v32, v[27:28]
	v_mov_b32_e32 v23, v29
	v_mov_b32_e32 v25, v30
	v_lshlrev_b64 v[20:21], 2, v[20:21]
	v_lshlrev_b64 v[22:23], 2, v[22:23]
	v_mov_b32_e32 v27, v31
	v_lshlrev_b64 v[24:25], 2, v[24:25]
	v_add_co_u32 v20, vcc_lo, v12, v20
	v_add_co_ci_u32_e32 v21, vcc_lo, v13, v21, vcc_lo
	v_add_co_u32 v22, vcc_lo, v12, v22
	v_lshlrev_b64 v[26:27], 2, v[26:27]
	v_add_co_ci_u32_e32 v23, vcc_lo, v13, v23, vcc_lo
	v_add_co_u32 v24, vcc_lo, v12, v24
	v_add_co_ci_u32_e32 v25, vcc_lo, v13, v25, vcc_lo
	v_add_co_u32 v12, vcc_lo, v12, v26
	v_add_co_ci_u32_e32 v13, vcc_lo, v13, v27, vcc_lo
	s_clause 0x3
	global_load_dword v21, v[20:21], off
	global_load_dword v20, v[22:23], off
	;; [unrolled: 1-line block ×4, first 2 shown]
.LBB0_15:
	s_or_b32 exec_lo, exec_lo, s6
	s_cbranch_execz .LBB0_17
	s_branch .LBB0_24
.LBB0_16:
                                        ; implicit-def: $vgpr10
                                        ; implicit-def: $vgpr3
                                        ; implicit-def: $vgpr11
                                        ; implicit-def: $vgpr8
                                        ; implicit-def: $vgpr9
                                        ; implicit-def: $vgpr4
                                        ; implicit-def: $vgpr2
                                        ; implicit-def: $vgpr5
                                        ; implicit-def: $vgpr22
                                        ; implicit-def: $vgpr20
                                        ; implicit-def: $vgpr23
                                        ; implicit-def: $vgpr21
                                        ; implicit-def: $vgpr19
.LBB0_17:
	s_mov_b32 s0, exec_lo
                                        ; implicit-def: $vgpr19
	v_cmpx_le_u64_e64 s[24:25], v[6:7]
	s_xor_b32 s0, exec_lo, s0
; %bb.18:
	v_add_nc_u32_e32 v19, 16, v14
                                        ; implicit-def: $vgpr1
; %bb.19:
	s_or_saveexec_b32 s0, s0
                                        ; implicit-def: $vgpr10
                                        ; implicit-def: $vgpr3
                                        ; implicit-def: $vgpr11
                                        ; implicit-def: $vgpr8
                                        ; implicit-def: $vgpr9
                                        ; implicit-def: $vgpr4
                                        ; implicit-def: $vgpr2
                                        ; implicit-def: $vgpr5
                                        ; implicit-def: $vgpr22
                                        ; implicit-def: $vgpr20
                                        ; implicit-def: $vgpr23
                                        ; implicit-def: $vgpr21
	s_xor_b32 exec_lo, exec_lo, s0
	s_cbranch_execz .LBB0_23
; %bb.20:
	s_waitcnt vmcnt(1)
	v_mad_u64_u32 v[2:3], null, s22, v18, 0
	v_mad_u64_u32 v[4:5], null, s20, v14, 0
	;; [unrolled: 1-line block ×3, first 2 shown]
	s_waitcnt vmcnt(0)
	v_mad_u64_u32 v[8:9], null, s20, v16, 0
	s_lshl_b64 s[4:5], s[4:5], 2
	v_mad_u64_u32 v[21:22], null, s20, v15, 0
	v_mad_u64_u32 v[10:11], null, s23, v18, v[3:4]
	v_mad_u64_u32 v[11:12], null, s21, v14, v[5:6]
	s_add_u32 s4, s12, s4
	s_addc_u32 s5, s13, s5
	v_add_nc_u32_e32 v27, 56, v14
	v_or_b32_e32 v32, 0x60, v14
	v_mov_b32_e32 v3, v10
	v_mov_b32_e32 v10, v20
	;; [unrolled: 1-line block ×3, first 2 shown]
	v_add_nc_u32_e32 v33, 0x88, v14
	v_mad_u64_u32 v[25:26], null, s20, v32, 0
	v_lshlrev_b64 v[2:3], 2, v[2:3]
	v_mad_u64_u32 v[11:12], null, s21, v16, v[9:10]
	v_lshlrev_b64 v[4:5], 2, v[4:5]
	v_add_co_u32 v12, vcc_lo, s4, v2
	v_add_co_ci_u32_e32 v13, vcc_lo, s5, v3, vcc_lo
	v_mov_b32_e32 v9, v11
	v_add_co_u32 v2, vcc_lo, v12, v4
	v_mad_u64_u32 v[23:24], null, s21, v17, v[10:11]
	v_add_co_ci_u32_e32 v3, vcc_lo, v13, v5, vcc_lo
	v_lshlrev_b64 v[4:5], 2, v[8:9]
	v_mad_u64_u32 v[9:10], null, s20, v1, 0
	v_mov_b32_e32 v8, v22
	v_mov_b32_e32 v20, v23
	s_mov_b32 s4, exec_lo
	v_add_co_u32 v4, vcc_lo, v12, v4
	v_add_co_ci_u32_e32 v5, vcc_lo, v13, v5, vcc_lo
	v_mad_u64_u32 v[22:23], null, s21, v15, v[8:9]
	v_mad_u64_u32 v[23:24], null, s20, v27, 0
	v_mov_b32_e32 v8, v10
	v_lshlrev_b64 v[10:11], 2, v[19:20]
	v_mad_u64_u32 v[19:20], null, s21, v1, v[8:9]
	v_mov_b32_e32 v8, v24
	v_add_co_u32 v30, vcc_lo, v12, v10
	v_lshlrev_b64 v[20:21], 2, v[21:22]
	v_add_co_ci_u32_e32 v31, vcc_lo, v13, v11, vcc_lo
	v_mad_u64_u32 v[27:28], null, s21, v27, v[8:9]
	v_mad_u64_u32 v[28:29], null, s20, v33, 0
	v_mov_b32_e32 v8, v26
	v_mov_b32_e32 v10, v19
	v_add_co_u32 v19, vcc_lo, v12, v20
	v_mov_b32_e32 v24, v27
	v_mad_u64_u32 v[26:27], null, s21, v32, v[8:9]
	v_lshlrev_b64 v[9:10], 2, v[9:10]
	v_mov_b32_e32 v8, v29
	v_add_co_ci_u32_e32 v20, vcc_lo, v13, v21, vcc_lo
	v_mad_u64_u32 v[21:22], null, s21, v33, v[8:9]
	v_lshlrev_b64 v[22:23], 2, v[23:24]
	v_add_co_u32 v32, vcc_lo, v12, v9
	v_lshlrev_b64 v[8:9], 2, v[25:26]
	v_add_co_ci_u32_e32 v33, vcc_lo, v13, v10, vcc_lo
	v_mov_b32_e32 v29, v21
	v_add_co_u32 v21, vcc_lo, v12, v22
	v_add_co_ci_u32_e32 v22, vcc_lo, v13, v23, vcc_lo
	v_lshlrev_b64 v[10:11], 2, v[28:29]
	v_add_co_u32 v23, vcc_lo, v12, v8
	v_add_co_ci_u32_e32 v24, vcc_lo, v13, v9, vcc_lo
	v_add_co_u32 v25, vcc_lo, v12, v10
	v_add_co_ci_u32_e32 v26, vcc_lo, v13, v11, vcc_lo
	s_clause 0x7
	global_load_dword v8, v[2:3], off
	global_load_dword v3, v[4:5], off
	;; [unrolled: 1-line block ×8, first 2 shown]
                                        ; implicit-def: $vgpr22
                                        ; implicit-def: $vgpr20
                                        ; implicit-def: $vgpr23
                                        ; implicit-def: $vgpr21
	v_cmpx_gt_u32_e32 0x60, v0
	s_cbranch_execz .LBB0_22
; %bb.21:
	v_or_b32_e32 v27, 32, v14
	v_add_nc_u32_e32 v29, 0x48, v14
	v_or_b32_e32 v30, 0x70, v14
	v_add_nc_u32_e32 v31, 0x98, v14
	v_mad_u64_u32 v[19:20], null, s20, v27, 0
	v_mad_u64_u32 v[21:22], null, s20, v29, 0
	v_mad_u64_u32 v[23:24], null, s20, v30, 0
	v_mad_u64_u32 v[25:26], null, s20, v31, 0
	v_mad_u64_u32 v[27:28], null, s21, v27, v[20:21]
	v_mad_u64_u32 v[28:29], null, s21, v29, v[22:23]
	v_mad_u64_u32 v[29:30], null, s21, v30, v[24:25]
	v_mov_b32_e32 v20, v27
	v_mad_u64_u32 v[30:31], null, s21, v31, v[26:27]
	v_mov_b32_e32 v22, v28
	v_mov_b32_e32 v24, v29
	v_lshlrev_b64 v[19:20], 2, v[19:20]
	v_lshlrev_b64 v[21:22], 2, v[21:22]
	v_mov_b32_e32 v26, v30
	v_lshlrev_b64 v[23:24], 2, v[23:24]
	v_add_co_u32 v19, vcc_lo, v12, v19
	v_add_co_ci_u32_e32 v20, vcc_lo, v13, v20, vcc_lo
	v_add_co_u32 v27, vcc_lo, v12, v21
	v_add_co_ci_u32_e32 v28, vcc_lo, v13, v22, vcc_lo
	v_lshlrev_b64 v[21:22], 2, v[25:26]
	v_add_co_u32 v23, vcc_lo, v12, v23
	v_add_co_ci_u32_e32 v24, vcc_lo, v13, v24, vcc_lo
	v_add_co_u32 v12, vcc_lo, v12, v21
	v_add_co_ci_u32_e32 v13, vcc_lo, v13, v22, vcc_lo
	s_clause 0x3
	global_load_dword v21, v[19:20], off
	global_load_dword v20, v[27:28], off
	;; [unrolled: 1-line block ×4, first 2 shown]
.LBB0_22:
	s_or_b32 exec_lo, exec_lo, s4
	v_mov_b32_e32 v19, v1
.LBB0_23:
	s_or_b32 exec_lo, exec_lo, s0
.LBB0_24:
	s_waitcnt vmcnt(1)
	v_pk_add_f16 v12, v21, v23 neg_lo:[0,1] neg_hi:[0,1]
	s_waitcnt vmcnt(0)
	v_pk_add_f16 v1, v20, v22 neg_lo:[0,1] neg_hi:[0,1]
	v_pk_add_f16 v22, v8, v11 neg_lo:[0,1] neg_hi:[0,1]
	;; [unrolled: 1-line block ×4, first 2 shown]
	v_pk_fma_f16 v10, v21, 2.0, v12 op_sel_hi:[1,0,1] neg_lo:[0,0,1] neg_hi:[0,0,1]
	v_mul_u32_u24_e32 v21, 48, v14
	v_pk_fma_f16 v24, v8, 2.0, v22 op_sel_hi:[1,0,1] neg_lo:[0,0,1] neg_hi:[0,0,1]
	v_pk_fma_f16 v3, v3, 2.0, v23 op_sel_hi:[1,0,1] neg_lo:[0,0,1] neg_hi:[0,0,1]
	;; [unrolled: 1-line block ×3, first 2 shown]
	v_pk_add_f16 v20, v12, v1 op_sel:[0,1] op_sel_hi:[1,0] neg_lo:[0,1] neg_hi:[0,1]
	v_pk_add_f16 v13, v12, v1 op_sel:[0,1] op_sel_hi:[1,0]
	v_lshl_add_u32 v8, v21, 2, 0
	v_pk_add_f16 v25, v24, v3 neg_lo:[0,1] neg_hi:[0,1]
	v_pk_add_f16 v1, v22, v23 op_sel:[0,1] op_sel_hi:[1,0] neg_lo:[0,1] neg_hi:[0,1]
	v_pk_add_f16 v21, v22, v23 op_sel:[0,1] op_sel_hi:[1,0]
	v_lshrrev_b32_e32 v23, 16, v24
	s_mov_b32 s0, 0
	v_lshrrev_b32_e32 v26, 16, v25
	v_pk_fma_f16 v4, v4, 2.0, v9 op_sel_hi:[1,0,1] neg_lo:[0,0,1] neg_hi:[0,0,1]
	v_bfi_b32 v28, 0xffff, v1, v21
	v_pk_add_f16 v21, v5, v2 neg_lo:[0,1] neg_hi:[0,1]
	v_mad_u64_u32 v[1:2], null, 0xc0, v19, s[0:1]
	v_fma_f16 v23, v23, 2.0, -v26
	v_alignbit_b32 v26, s0, v9, 16
	v_alignbit_b32 v2, s0, v21, 16
	v_lshrrev_b32_e32 v29, 16, v21
	v_pk_fma_f16 v5, v5, 2.0, v21 op_sel_hi:[1,0,1] neg_lo:[0,0,1] neg_hi:[0,0,1]
	v_lshlrev_b32_e32 v3, 2, v18
	v_pk_add_f16 v26, v21, v26 neg_lo:[0,1] neg_hi:[0,1]
	v_pk_add_f16 v2, v2, v9
	v_fma_f16 v9, v24, 2.0, -v25
	v_lshlrev_b32_e32 v23, 16, v23
	v_pk_add_f16 v4, v5, v4 neg_lo:[0,1] neg_hi:[0,1]
	v_fma_f16 v21, v21, 2.0, -v26
	v_fma_f16 v24, v29, 2.0, -v2
	v_add_nc_u32_e32 v27, v8, v3
	v_pk_fma_f16 v22, v22, 2.0, v28 op_sel_hi:[1,0,1] neg_lo:[0,0,1] neg_hi:[0,0,1]
	v_or_b32_sdwa v9, v23, v9 dst_sel:DWORD dst_unused:UNUSED_PAD src0_sel:DWORD src1_sel:WORD_0
	v_cmp_gt_u32_e64 s0, 0x60, v0
	v_pack_b32_f16 v24, v21, v24
	v_lshrrev_b32_e32 v21, 16, v13
	v_add_nc_u32_e32 v23, v1, v3
	v_pk_fma_f16 v5, v5, 2.0, v4 op_sel_hi:[1,0,1] neg_lo:[0,0,1] neg_hi:[0,0,1]
	v_pack_b32_f16 v2, v26, v2
	s_mov_b32 s4, exec_lo
	ds_write2_b32 v27, v9, v22 offset1:12
	ds_write2_b32 v27, v25, v28 offset0:24 offset1:36
	ds_write2_b32 v23, v5, v24 offset1:12
	ds_write2_b32 v23, v4, v2 offset0:24 offset1:36
	v_cmpx_lt_u32_e32 0x5f, v0
	s_xor_b32 s4, exec_lo, s4
; %bb.25:
                                        ; implicit-def: $vgpr13
                                        ; implicit-def: $vgpr12
; %bb.26:
	s_or_saveexec_b32 s4, s4
	v_pk_add_f16 v22, v10, v11 neg_lo:[0,1] neg_hi:[0,1]
	s_xor_b32 exec_lo, exec_lo, s4
	s_cbranch_execz .LBB0_28
; %bb.27:
	v_bfi_b32 v0, 0xffff, v20, v13
	v_lshl_add_u32 v2, v18, 2, v8
	v_pk_fma_f16 v4, v10, 2.0, v22 op_sel_hi:[1,0,1] neg_lo:[0,0,1] neg_hi:[0,0,1]
	v_pk_fma_f16 v5, v12, 2.0, v0 op_sel_hi:[1,0,1] neg_lo:[0,0,1] neg_hi:[0,0,1]
	v_add_nc_u32_e32 v2, 0x1800, v2
	ds_write2_b32 v2, v4, v5 offset1:12
	ds_write2_b32 v2, v22, v0 offset0:24 offset1:36
.LBB0_28:
	s_or_b32 exec_lo, exec_lo, s4
	v_and_b32_e32 v13, 3, v14
	s_waitcnt lgkmcnt(0)
	s_barrier
	buffer_gl0_inv
	v_mul_lo_u32 v2, 0xffffff70, v19
	v_mul_u32_u24_e32 v0, 9, v13
	v_lshrrev_b32_e32 v4, 2, v14
	s_mov_b32 s4, 0
	v_lshlrev_b32_e32 v0, 2, v0
	s_clause 0x2
	global_load_dwordx4 v[9:12], v0, s[28:29]
	global_load_dwordx4 v[23:26], v0, s[28:29] offset:16
	global_load_dword v31, v0, s[28:29] offset:32
	v_mul_i32_i24_e32 v0, 0xffffff70, v14
	v_add3_u32 v32, v1, v2, v3
	v_add3_u32 v0, v8, v0, v3
	v_mul_u32_u24_e32 v8, 40, v4
	ds_read2st64_b32 v[1:2], v0 offset1:6
	ds_read2st64_b32 v[4:5], v0 offset0:15 offset1:18
	ds_read2st64_b32 v[27:28], v0 offset0:21 offset1:24
	v_or_b32_e32 v8, v8, v13
	ds_read_b32 v13, v32
	ds_read2st64_b32 v[29:30], v0 offset0:9 offset1:12
	ds_read_b32 v33, v0 offset:6912
	v_add_nc_u32_e32 v34, 0x80, v0
	s_waitcnt vmcnt(0) lgkmcnt(0)
	s_barrier
	v_mul_u32_u24_e32 v8, 48, v8
	buffer_gl0_inv
	v_add3_u32 v3, 0, v8, v3
	v_add_nc_u32_e32 v8, 0x400, v3
	v_lshrrev_b32_e32 v39, 16, v2
	v_lshrrev_b32_e32 v36, 16, v5
	;; [unrolled: 1-line block ×10, first 2 shown]
	v_mul_f16_sdwa v45, v9, v40 dst_sel:DWORD dst_unused:UNUSED_PAD src0_sel:WORD_1 src1_sel:DWORD
	v_mul_f16_sdwa v46, v9, v13 dst_sel:DWORD dst_unused:UNUSED_PAD src0_sel:WORD_1 src1_sel:DWORD
	;; [unrolled: 1-line block ×10, first 2 shown]
	v_mul_f16_sdwa v55, v36, v24 dst_sel:DWORD dst_unused:UNUSED_PAD src0_sel:DWORD src1_sel:WORD_1
	v_mul_f16_sdwa v56, v5, v24 dst_sel:DWORD dst_unused:UNUSED_PAD src0_sel:DWORD src1_sel:WORD_1
	;; [unrolled: 1-line block ×8, first 2 shown]
	v_fma_f16 v13, v9, v13, -v45
	v_fmac_f16_e32 v46, v9, v40
	v_fma_f16 v2, v10, v2, -v47
	v_fmac_f16_e32 v48, v10, v39
	;; [unrolled: 2-line block ×9, first 2 shown]
	v_add_f16_e32 v24, v1, v2
	v_add_f16_e32 v25, v10, v5
	v_sub_f16_e32 v28, v2, v10
	v_sub_f16_e32 v29, v12, v5
	v_add_f16_e32 v30, v2, v12
	v_add_f16_e32 v36, v35, v48
	;; [unrolled: 1-line block ×9, first 2 shown]
	v_sub_f16_e32 v31, v10, v2
	v_sub_f16_e32 v38, v10, v5
	;; [unrolled: 1-line block ×8, first 2 shown]
	v_add_f16_e32 v10, v24, v10
	v_fma_f16 v24, -0.5, v25, v1
	v_add_f16_e32 v25, v28, v29
	v_fmac_f16_e32 v1, -0.5, v30
	v_add_f16_e32 v29, v36, v52
	v_fma_f16 v30, -0.5, v37, v35
	v_fmac_f16_e32 v35, -0.5, v41
	v_add_f16_e32 v4, v44, v4
	v_fma_f16 v36, -0.5, v45, v13
	v_fma_f16 v41, -0.5, v61, v46
	v_sub_f16_e32 v26, v48, v60
	v_sub_f16_e32 v33, v5, v12
	;; [unrolled: 1-line block ×7, first 2 shown]
	v_add_f16_e32 v59, v46, v50
	v_sub_f16_e32 v64, v50, v54
	v_sub_f16_e32 v50, v54, v50
	;; [unrolled: 1-line block ×3, first 2 shown]
	v_fmac_f16_e32 v13, -0.5, v53
	v_fmac_f16_e32 v46, -0.5, v66
	v_sub_f16_e32 v57, v11, v23
	v_sub_f16_e32 v65, v62, v58
	v_add_f16_e32 v37, v49, v51
	v_add_f16_e32 v4, v4, v11
	v_fmamk_f16 v11, v47, 0x3b9c, v36
	v_fmamk_f16 v51, v9, 0xbb9c, v41
	v_sub_f16_e32 v27, v52, v56
	v_add_f16_e32 v28, v31, v33
	v_add_f16_e32 v31, v39, v40
	;; [unrolled: 1-line block ×5, first 2 shown]
	v_fmamk_f16 v50, v48, 0xbb9c, v13
	v_fmac_f16_e32 v13, 0x3b9c, v48
	v_fmamk_f16 v52, v63, 0x3b9c, v46
	v_fmac_f16_e32 v46, 0xbb9c, v63
	v_sub_f16_e32 v2, v2, v12
	v_fmac_f16_e32 v36, 0xbb9c, v47
	v_fmac_f16_e32 v41, 0x3b9c, v9
	v_add_f16_e32 v42, v64, v65
	v_add_f16_e32 v5, v10, v5
	v_fmamk_f16 v49, v38, 0x3b9c, v35
	v_fmac_f16_e32 v35, 0xbb9c, v38
	v_fmac_f16_e32 v11, 0x38b4, v48
	v_fmac_f16_e32 v51, 0xb8b4, v63
	v_add_f16_e32 v39, v55, v57
	v_fmamk_f16 v10, v26, 0x3b9c, v24
	v_fmac_f16_e32 v24, 0xbb9c, v26
	v_fmamk_f16 v44, v27, 0xbb9c, v1
	v_fmac_f16_e32 v1, 0x3b9c, v27
	v_add_f16_e32 v29, v29, v56
	v_add_f16_e32 v40, v40, v58
	v_fmac_f16_e32 v50, 0x38b4, v47
	v_fmac_f16_e32 v13, 0xb8b4, v47
	;; [unrolled: 1-line block ×4, first 2 shown]
	v_fmamk_f16 v45, v2, 0xbb9c, v30
	v_fmac_f16_e32 v30, 0x3b9c, v2
	v_fmac_f16_e32 v36, 0xb8b4, v48
	;; [unrolled: 1-line block ×3, first 2 shown]
	v_add_f16_e32 v5, v5, v12
	v_fmac_f16_e32 v49, 0xb8b4, v2
	v_fmac_f16_e32 v35, 0x38b4, v2
	v_add_f16_e32 v2, v4, v23
	v_fmac_f16_e32 v11, 0x34f2, v37
	v_fmac_f16_e32 v51, 0x34f2, v42
	;; [unrolled: 1-line block ×6, first 2 shown]
	v_add_f16_e32 v12, v29, v60
	v_add_f16_e32 v4, v40, v62
	v_fmac_f16_e32 v50, 0x34f2, v39
	v_fmac_f16_e32 v13, 0x34f2, v39
	;; [unrolled: 1-line block ×8, first 2 shown]
	v_add_f16_e32 v9, v5, v2
	v_sub_f16_e32 v2, v5, v2
	v_mul_f16_e32 v5, 0x38b4, v51
	v_mul_f16_e32 v27, 0xb8b4, v11
	v_fmac_f16_e32 v10, 0x34f2, v25
	v_fmac_f16_e32 v24, 0x34f2, v25
	;; [unrolled: 1-line block ×4, first 2 shown]
	v_add_f16_e32 v23, v12, v4
	v_sub_f16_e32 v4, v12, v4
	v_mul_f16_e32 v12, 0x3b9c, v52
	v_mul_f16_e32 v25, 0x34f2, v13
	;; [unrolled: 1-line block ×4, first 2 shown]
	v_fmac_f16_e32 v45, 0x34f2, v31
	v_fmac_f16_e32 v30, 0x34f2, v31
	v_mul_f16_e32 v26, 0x3a79, v36
	v_mul_f16_e32 v31, 0x3a79, v41
	v_fmac_f16_e32 v5, 0x3a79, v11
	v_fmac_f16_e32 v27, 0x3a79, v51
	;; [unrolled: 1-line block ×4, first 2 shown]
	v_pack_b32_f16 v2, v2, v4
	v_fmac_f16_e32 v12, 0x34f2, v50
	v_fma_f16 v4, v46, 0x3b9c, -v25
	v_fmac_f16_e32 v28, 0x34f2, v52
	v_fma_f16 v13, v13, 0xbb9c, -v29
	v_fma_f16 v11, v41, 0x38b4, -v26
	;; [unrolled: 1-line block ×3, first 2 shown]
	v_add_f16_e32 v29, v10, v5
	v_add_f16_e32 v37, v45, v27
	;; [unrolled: 1-line block ×8, first 2 shown]
	v_pack_b32_f16 v9, v9, v23
	v_sub_f16_e32 v5, v10, v5
	v_sub_f16_e32 v10, v44, v12
	;; [unrolled: 1-line block ×8, first 2 shown]
	v_pack_b32_f16 v11, v29, v37
	v_pack_b32_f16 v12, v31, v38
	;; [unrolled: 1-line block ×8, first 2 shown]
	ds_write2_b32 v3, v9, v11 offset1:48
	ds_write2_b32 v3, v12, v13 offset0:96 offset1:144
	ds_write2_b32 v3, v27, v2 offset0:192 offset1:240
	;; [unrolled: 1-line block ×4, first 2 shown]
	s_waitcnt lgkmcnt(0)
	s_barrier
	buffer_gl0_inv
	ds_read2st64_b32 v[8:9], v34 offset0:7 offset1:10
	ds_read2st64_b32 v[10:11], v0 offset0:15 offset1:18
	;; [unrolled: 1-line block ×3, first 2 shown]
	ds_read_b32 v42, v0
	ds_read_b32 v41, v32
	s_and_saveexec_b32 s5, s0
	s_cbranch_execz .LBB0_30
; %bb.29:
	v_add_nc_u32_e32 v1, 0x600, v0
	ds_read_b32 v23, v1
	ds_read_b32 v20, v0 offset:7296
	ds_read_b32 v25, v0 offset:3456
	;; [unrolled: 1-line block ×3, first 2 shown]
	s_waitcnt lgkmcnt(3)
	v_lshrrev_b32_e32 v24, 16, v23
	s_waitcnt lgkmcnt(2)
	v_lshrrev_b32_e32 v21, 16, v20
	;; [unrolled: 2-line block ×3, first 2 shown]
.LBB0_30:
	s_or_b32 exec_lo, exec_lo, s5
	v_mul_u32_u24_e32 v0, 3, v14
	v_mul_lo_u32 v1, v6, v14
	v_mul_lo_u32 v2, v6, v16
	v_mov_b32_e32 v28, 2
	v_mul_lo_u32 v27, v6, v17
	v_lshlrev_b32_e32 v0, 2, v0
	v_mul_lo_u32 v30, v6, v15
	s_waitcnt lgkmcnt(2)
	v_lshrrev_b32_e32 v75, 16, v13
	v_lshrrev_b32_e32 v76, 16, v11
	v_lshlrev_b32_sdwa v29, v28, v1 dst_sel:DWORD dst_unused:UNUSED_PAD src0_sel:DWORD src1_sel:BYTE_1
	global_load_dwordx3 v[3:5], v0, s[28:29] offset:144
	v_lshlrev_b32_sdwa v0, v28, v1 dst_sel:DWORD dst_unused:UNUSED_PAD src0_sel:DWORD src1_sel:BYTE_0
	v_lshlrev_b32_sdwa v31, v28, v2 dst_sel:DWORD dst_unused:UNUSED_PAD src0_sel:DWORD src1_sel:BYTE_0
	v_bfe_u32 v1, v1, 16, 8
	v_lshlrev_b32_sdwa v32, v28, v30 dst_sel:DWORD dst_unused:UNUSED_PAD src0_sel:DWORD src1_sel:BYTE_0
	s_clause 0x1
	global_load_dword v46, v0, s[16:17]
	global_load_dword v47, v29, s[16:17] offset:1024
	v_lshlrev_b32_sdwa v0, v28, v2 dst_sel:DWORD dst_unused:UNUSED_PAD src0_sel:DWORD src1_sel:BYTE_1
	v_lshlrev_b32_sdwa v29, v28, v27 dst_sel:DWORD dst_unused:UNUSED_PAD src0_sel:DWORD src1_sel:BYTE_0
	global_load_dword v48, v31, s[16:17]
	v_lshlrev_b32_sdwa v31, v28, v27 dst_sel:DWORD dst_unused:UNUSED_PAD src0_sel:DWORD src1_sel:BYTE_1
	s_clause 0x2
	global_load_dword v49, v0, s[16:17] offset:1024
	global_load_dword v50, v29, s[16:17]
	global_load_dword v51, v31, s[16:17] offset:1024
	v_and_b32_e32 v0, 0xff, v19
	v_bfe_u32 v2, v2, 16, 8
	v_lshlrev_b32_sdwa v33, v28, v30 dst_sel:DWORD dst_unused:UNUSED_PAD src0_sel:DWORD src1_sel:BYTE_1
	v_bfe_u32 v30, v30, 16, 8
	v_lshl_or_b32 v1, v1, 2, 0x800
	v_mul_lo_u16 v0, 0xcd, v0
	v_lshl_or_b32 v2, v2, 2, 0x800
	s_clause 0x1
	global_load_dword v52, v32, s[16:17]
	global_load_dword v53, v33, s[16:17] offset:1024
	v_lshrrev_b32_e32 v77, 16, v9
	s_waitcnt lgkmcnt(0)
	v_lshrrev_b32_e32 v74, 16, v41
	v_lshrrev_b16 v29, 13, v0
	v_lshl_or_b32 v0, v30, 2, 0x800
	s_clause 0x2
	global_load_dword v54, v2, s[16:17]
	global_load_dword v55, v1, s[16:17]
	;; [unrolled: 1-line block ×3, first 2 shown]
	v_mul_lo_u16 v0, v29, 40
	v_bfe_u32 v2, v27, 16, 8
	s_mul_i32 s3, s3, s26
	s_mul_hi_u32 s5, s2, s26
	s_mul_i32 s2, s2, s26
	v_sub_nc_u16 v0, v19, v0
	v_lshl_or_b32 v2, v2, 2, 0x800
	s_add_i32 s3, s5, s3
	s_add_u32 s2, s2, s46
	s_addc_u32 s3, s3, s33
	v_and_b32_e32 v0, 0xff, v0
	s_andn2_b32 vcc_lo, exec_lo, s1
	v_mul_u32_u24_e32 v1, 3, v0
	v_mul_lo_u32 v27, v6, v0
	v_add_nc_u32_e32 v32, 0x50, v0
	v_lshlrev_b32_e32 v1, 2, v1
	v_lshlrev_b32_sdwa v30, v28, v27 dst_sel:DWORD dst_unused:UNUSED_PAD src0_sel:DWORD src1_sel:BYTE_0
	global_load_dwordx3 v[43:45], v1, s[28:29] offset:144
	v_add_nc_u32_e32 v1, 40, v0
	v_lshlrev_b32_sdwa v31, v28, v27 dst_sel:DWORD dst_unused:UNUSED_PAD src0_sel:DWORD src1_sel:BYTE_1
	v_add_nc_u32_e32 v0, 0x78, v0
	v_bfe_u32 v27, v27, 16, 8
	s_clause 0x1
	global_load_dword v57, v30, s[16:17]
	global_load_dword v58, v31, s[16:17] offset:1024
	v_mul_lo_u32 v1, v6, v1
	v_mul_lo_u32 v30, v6, v32
	;; [unrolled: 1-line block ×3, first 2 shown]
	v_lshl_or_b32 v32, v27, 2, 0x800
	v_or_b32_e32 v27, 32, v14
	v_lshlrev_b32_sdwa v31, v28, v1 dst_sel:DWORD dst_unused:UNUSED_PAD src0_sel:DWORD src1_sel:BYTE_0
	v_lshlrev_b32_sdwa v33, v28, v1 dst_sel:DWORD dst_unused:UNUSED_PAD src0_sel:DWORD src1_sel:BYTE_1
	s_clause 0x2
	global_load_dword v59, v31, s[16:17]
	global_load_dword v60, v32, s[16:17]
	;; [unrolled: 1-line block ×3, first 2 shown]
	v_lshlrev_b32_sdwa v2, v28, v30 dst_sel:DWORD dst_unused:UNUSED_PAD src0_sel:DWORD src1_sel:BYTE_0
	v_lshlrev_b32_sdwa v31, v28, v30 dst_sel:DWORD dst_unused:UNUSED_PAD src0_sel:DWORD src1_sel:BYTE_1
	v_lshlrev_b32_sdwa v32, v28, v0 dst_sel:DWORD dst_unused:UNUSED_PAD src0_sel:DWORD src1_sel:BYTE_0
	v_lshlrev_b32_sdwa v34, v28, v0 dst_sel:DWORD dst_unused:UNUSED_PAD src0_sel:DWORD src1_sel:BYTE_1
	s_clause 0x4
	global_load_dword v62, v33, s[16:17] offset:1024
	global_load_dword v63, v2, s[16:17]
	global_load_dword v64, v31, s[16:17] offset:1024
	global_load_dword v65, v32, s[16:17]
	global_load_dword v66, v34, s[16:17] offset:1024
	v_mul_lo_u16 v2, v27, 13
	v_bfe_u32 v0, v0, 16, 8
	v_bfe_u32 v30, v30, 16, 8
	;; [unrolled: 1-line block ×3, first 2 shown]
	v_lshrrev_b16 v2, 9, v2
	v_lshl_or_b32 v0, v0, 2, 0x800
	v_lshl_or_b32 v30, v30, 2, 0x800
	;; [unrolled: 1-line block ×3, first 2 shown]
	s_clause 0x2
	global_load_dword v67, v0, s[16:17]
	global_load_dword v68, v30, s[16:17]
	;; [unrolled: 1-line block ×3, first 2 shown]
	v_mul_lo_u16 v2, v2, 40
	v_sub_nc_u16 v2, v27, v2
	v_and_b32_e32 v2, 0xff, v2
	v_mul_u32_u24_e32 v0, 3, v2
	v_mul_lo_u32 v1, v6, v2
	v_add_nc_u32_e32 v30, 40, v2
	v_add_nc_u32_e32 v31, 0x50, v2
	;; [unrolled: 1-line block ×3, first 2 shown]
	v_lshlrev_b32_e32 v0, 2, v0
	v_mul_lo_u32 v30, v6, v30
	v_mul_lo_u32 v31, v6, v31
	v_mul_lo_u32 v33, v6, v2
	v_bfe_u32 v32, v1, 16, 8
	v_lshlrev_b32_sdwa v34, v28, v1 dst_sel:DWORD dst_unused:UNUSED_PAD src0_sel:DWORD src1_sel:BYTE_0
	v_lshlrev_b32_sdwa v35, v28, v1 dst_sel:DWORD dst_unused:UNUSED_PAD src0_sel:DWORD src1_sel:BYTE_1
	global_load_dwordx3 v[0:2], v0, s[28:29] offset:144
	v_lshlrev_b32_sdwa v36, v28, v30 dst_sel:DWORD dst_unused:UNUSED_PAD src0_sel:DWORD src1_sel:BYTE_0
	v_lshlrev_b32_sdwa v37, v28, v30 dst_sel:DWORD dst_unused:UNUSED_PAD src0_sel:DWORD src1_sel:BYTE_1
	v_bfe_u32 v30, v30, 16, 8
	v_lshlrev_b32_sdwa v70, v28, v31 dst_sel:DWORD dst_unused:UNUSED_PAD src0_sel:DWORD src1_sel:BYTE_0
	v_lshlrev_b32_sdwa v71, v28, v31 dst_sel:DWORD dst_unused:UNUSED_PAD src0_sel:DWORD src1_sel:BYTE_1
	v_bfe_u32 v31, v31, 16, 8
	v_bfe_u32 v38, v33, 16, 8
	v_lshl_or_b32 v32, v32, 2, 0x800
	v_lshlrev_b32_sdwa v72, v28, v33 dst_sel:DWORD dst_unused:UNUSED_PAD src0_sel:DWORD src1_sel:BYTE_0
	v_lshlrev_b32_sdwa v28, v28, v33 dst_sel:DWORD dst_unused:UNUSED_PAD src0_sel:DWORD src1_sel:BYTE_1
	v_lshl_or_b32 v30, v30, 2, 0x800
	v_lshl_or_b32 v73, v31, 2, 0x800
	;; [unrolled: 1-line block ×3, first 2 shown]
	s_clause 0xb
	global_load_dword v40, v34, s[16:17]
	global_load_dword v39, v35, s[16:17] offset:1024
	global_load_dword v35, v32, s[16:17]
	global_load_dword v38, v36, s[16:17]
	global_load_dword v37, v37, s[16:17] offset:1024
	global_load_dword v33, v71, s[16:17] offset:1024
	global_load_dword v34, v70, s[16:17]
	global_load_dword v36, v30, s[16:17]
	global_load_dword v30, v28, s[16:17] offset:1024
	global_load_dword v28, v31, s[16:17]
	global_load_dword v31, v72, s[16:17]
	;; [unrolled: 1-line block ×3, first 2 shown]
	v_lshrrev_b32_e32 v70, 16, v8
	v_lshrrev_b32_e32 v72, 16, v10
	;; [unrolled: 1-line block ×4, first 2 shown]
	s_waitcnt vmcnt(38)
	v_mul_f16_sdwa v78, v3, v8 dst_sel:DWORD dst_unused:UNUSED_PAD src0_sel:WORD_1 src1_sel:DWORD
	v_mul_f16_sdwa v79, v4, v10 dst_sel:DWORD dst_unused:UNUSED_PAD src0_sel:WORD_1 src1_sel:DWORD
	;; [unrolled: 1-line block ×5, first 2 shown]
	v_fmac_f16_e32 v78, v3, v70
	s_waitcnt vmcnt(37)
	v_lshrrev_b32_e32 v70, 16, v46
	v_mul_f16_sdwa v83, v5, v71 dst_sel:DWORD dst_unused:UNUSED_PAD src0_sel:WORD_1 src1_sel:DWORD
	v_fmac_f16_e32 v79, v4, v72
	s_waitcnt vmcnt(36)
	v_mul_f16_sdwa v72, v46, v47 dst_sel:DWORD dst_unused:UNUSED_PAD src0_sel:DWORD src1_sel:WORD_1
	v_fmac_f16_e32 v81, v5, v71
	s_waitcnt vmcnt(35)
	v_lshrrev_b32_e32 v71, 16, v48
	v_fma_f16 v3, v3, v8, -v80
	v_fma_f16 v4, v4, v10, -v82
	v_mul_f16_sdwa v8, v70, v47 dst_sel:DWORD dst_unused:UNUSED_PAD src0_sel:DWORD src1_sel:WORD_1
	s_waitcnt vmcnt(34)
	v_mul_f16_sdwa v10, v48, v49 dst_sel:DWORD dst_unused:UNUSED_PAD src0_sel:DWORD src1_sel:WORD_1
	v_fma_f16 v5, v5, v12, -v83
	s_waitcnt vmcnt(33)
	v_lshrrev_b32_e32 v12, 16, v50
	v_fmac_f16_e32 v72, v70, v47
	s_waitcnt vmcnt(32)
	v_mul_f16_sdwa v70, v50, v51 dst_sel:DWORD dst_unused:UNUSED_PAD src0_sel:DWORD src1_sel:WORD_1
	v_fma_f16 v8, v46, v47, -v8
	s_waitcnt vmcnt(31)
	v_lshrrev_b32_e32 v46, 16, v52
	s_waitcnt vmcnt(30)
	v_mul_f16_sdwa v47, v52, v53 dst_sel:DWORD dst_unused:UNUSED_PAD src0_sel:DWORD src1_sel:WORD_1
	v_fmac_f16_e32 v10, v71, v49
	v_mul_f16_sdwa v71, v71, v49 dst_sel:DWORD dst_unused:UNUSED_PAD src0_sel:DWORD src1_sel:WORD_1
	v_fmac_f16_e32 v70, v12, v51
	;; [unrolled: 2-line block ×3, first 2 shown]
	v_mul_f16_sdwa v46, v46, v53 dst_sel:DWORD dst_unused:UNUSED_PAD src0_sel:DWORD src1_sel:WORD_1
	v_sub_f16_e32 v4, v42, v4
	v_sub_f16_e32 v79, v73, v79
	;; [unrolled: 1-line block ×4, first 2 shown]
	v_fma_f16 v48, v48, v49, -v71
	v_fma_f16 v49, v50, v51, -v12
	s_waitcnt vmcnt(28)
	v_mul_f16_sdwa v12, v72, v55 dst_sel:DWORD dst_unused:UNUSED_PAD src0_sel:DWORD src1_sel:WORD_1
	v_fma_f16 v46, v52, v53, -v46
	v_mul_f16_sdwa v50, v10, v54 dst_sel:DWORD dst_unused:UNUSED_PAD src0_sel:DWORD src1_sel:WORD_1
	s_waitcnt vmcnt(27)
	v_mul_f16_sdwa v51, v47, v56 dst_sel:DWORD dst_unused:UNUSED_PAD src0_sel:DWORD src1_sel:WORD_1
	v_fma_f16 v42, v42, 2.0, -v4
	v_fma_f16 v52, v73, 2.0, -v79
	;; [unrolled: 1-line block ×4, first 2 shown]
	v_sub_f16_e32 v71, v4, v80
	v_add_f16_e32 v73, v79, v5
	v_mul_f16_sdwa v5, v48, v54 dst_sel:DWORD dst_unused:UNUSED_PAD src0_sel:DWORD src1_sel:WORD_1
	v_mul_f16_sdwa v78, v8, v55 dst_sel:DWORD dst_unused:UNUSED_PAD src0_sel:DWORD src1_sel:WORD_1
	v_fma_f16 v80, v55, v8, -v12
	v_fma_f16 v8, v54, v48, -v50
	;; [unrolled: 1-line block ×3, first 2 shown]
	v_mul_f16_sdwa v12, v46, v56 dst_sel:DWORD dst_unused:UNUSED_PAD src0_sel:DWORD src1_sel:WORD_1
	v_sub_f16_e32 v3, v42, v3
	v_sub_f16_e32 v50, v52, v53
	v_fma_f16 v51, v79, 2.0, -v73
	v_fma_f16 v4, v4, 2.0, -v71
	v_fmac_f16_e32 v5, v54, v10
	v_fmac_f16_e32 v78, v55, v72
	;; [unrolled: 1-line block ×3, first 2 shown]
	v_fma_f16 v42, v42, 2.0, -v3
	v_fma_f16 v47, v52, 2.0, -v50
	v_mul_f16_e32 v52, v51, v5
	v_mul_f16_e32 v10, v4, v5
	;; [unrolled: 1-line block ×4, first 2 shown]
	s_waitcnt vmcnt(26)
	v_mul_f16_sdwa v54, v43, v77 dst_sel:DWORD dst_unused:UNUSED_PAD src0_sel:WORD_1 src1_sel:DWORD
	v_mul_f16_sdwa v55, v43, v9 dst_sel:DWORD dst_unused:UNUSED_PAD src0_sel:WORD_1 src1_sel:DWORD
	;; [unrolled: 1-line block ×6, first 2 shown]
	v_mul_f16_e32 v82, v47, v78
	v_mul_f16_e32 v46, v42, v78
	v_fma_f16 v12, v4, v8, -v52
	v_fmac_f16_e32 v10, v51, v8
	s_waitcnt vmcnt(25)
	v_lshrrev_b32_e32 v4, 16, v57
	s_waitcnt vmcnt(24)
	v_mul_f16_sdwa v51, v57, v58 dst_sel:DWORD dst_unused:UNUSED_PAD src0_sel:DWORD src1_sel:WORD_1
	v_fma_f16 v8, v71, v48, -v53
	v_fmac_f16_e32 v5, v73, v48
	v_fma_f16 v9, v43, v9, -v54
	v_fmac_f16_e32 v55, v43, v77
	;; [unrolled: 2-line block ×5, first 2 shown]
	s_waitcnt vmcnt(21)
	v_mul_f16_sdwa v42, v70, v61 dst_sel:DWORD dst_unused:UNUSED_PAD src0_sel:DWORD src1_sel:WORD_1
	v_mul_f16_sdwa v43, v49, v61 dst_sel:DWORD dst_unused:UNUSED_PAD src0_sel:DWORD src1_sel:WORD_1
	;; [unrolled: 1-line block ×3, first 2 shown]
	v_fmac_f16_e32 v51, v4, v58
	v_lshrrev_b32_e32 v4, 16, v59
	s_waitcnt vmcnt(20)
	v_mul_f16_sdwa v45, v59, v62 dst_sel:DWORD dst_unused:UNUSED_PAD src0_sel:DWORD src1_sel:WORD_1
	s_waitcnt vmcnt(19)
	v_lshrrev_b32_e32 v47, 16, v63
	s_waitcnt vmcnt(18)
	v_mul_f16_sdwa v52, v63, v64 dst_sel:DWORD dst_unused:UNUSED_PAD src0_sel:DWORD src1_sel:WORD_1
	s_waitcnt vmcnt(17)
	v_lshrrev_b32_e32 v53, 16, v65
	s_waitcnt vmcnt(16)
	v_mul_f16_sdwa v54, v65, v66 dst_sel:DWORD dst_unused:UNUSED_PAD src0_sel:DWORD src1_sel:WORD_1
	v_sub_f16_e32 v11, v41, v11
	v_sub_f16_e32 v56, v74, v72
	;; [unrolled: 1-line block ×4, first 2 shown]
	v_fma_f16 v42, v61, v49, -v42
	v_fmac_f16_e32 v43, v61, v70
	v_fma_f16 v44, v57, v58, -v44
	v_mul_f16_sdwa v49, v51, v60 dst_sel:DWORD dst_unused:UNUSED_PAD src0_sel:DWORD src1_sel:WORD_1
	v_mul_f16_sdwa v57, v4, v62 dst_sel:DWORD dst_unused:UNUSED_PAD src0_sel:DWORD src1_sel:WORD_1
	v_fmac_f16_e32 v45, v4, v62
	v_mul_f16_sdwa v4, v47, v64 dst_sel:DWORD dst_unused:UNUSED_PAD src0_sel:DWORD src1_sel:WORD_1
	v_fmac_f16_e32 v52, v47, v64
	;; [unrolled: 2-line block ×3, first 2 shown]
	v_fma_f16 v41, v41, 2.0, -v11
	v_fma_f16 v53, v74, 2.0, -v56
	;; [unrolled: 1-line block ×4, first 2 shown]
	v_sub_f16_e32 v61, v11, v71
	v_add_f16_e32 v70, v56, v13
	v_mul_f16_e32 v13, v50, v43
	v_mul_f16_e32 v47, v3, v43
	v_fma_f16 v71, v60, v44, -v49
	v_mul_f16_sdwa v43, v44, v60 dst_sel:DWORD dst_unused:UNUSED_PAD src0_sel:DWORD src1_sel:WORD_1
	v_fma_f16 v44, v59, v62, -v57
	v_fma_f16 v4, v63, v64, -v4
	s_waitcnt vmcnt(14)
	v_mul_f16_sdwa v59, v52, v68 dst_sel:DWORD dst_unused:UNUSED_PAD src0_sel:DWORD src1_sel:WORD_1
	v_fma_f16 v58, v65, v66, -v58
	s_waitcnt vmcnt(13)
	v_mul_f16_sdwa v57, v45, v69 dst_sel:DWORD dst_unused:UNUSED_PAD src0_sel:DWORD src1_sel:WORD_1
	v_sub_f16_e32 v63, v41, v9
	v_sub_f16_e32 v55, v53, v55
	v_fma_f16 v49, v3, v42, -v13
	v_fmac_f16_e32 v47, v50, v42
	v_mul_f16_sdwa v9, v44, v69 dst_sel:DWORD dst_unused:UNUSED_PAD src0_sel:DWORD src1_sel:WORD_1
	v_fma_f16 v13, v68, v4, -v59
	v_mul_f16_sdwa v4, v4, v68 dst_sel:DWORD dst_unused:UNUSED_PAD src0_sel:DWORD src1_sel:WORD_1
	v_mul_f16_sdwa v42, v58, v67 dst_sel:DWORD dst_unused:UNUSED_PAD src0_sel:DWORD src1_sel:WORD_1
	;; [unrolled: 1-line block ×3, first 2 shown]
	v_fma_f16 v64, v11, 2.0, -v61
	v_fma_f16 v56, v56, 2.0, -v70
	v_fmac_f16_e32 v43, v60, v51
	v_fma_f16 v3, v69, v44, -v57
	v_fma_f16 v44, v53, 2.0, -v55
	v_fma_f16 v51, v41, 2.0, -v63
	v_fmac_f16_e32 v9, v69, v45
	v_fmac_f16_e32 v4, v68, v52
	;; [unrolled: 1-line block ×3, first 2 shown]
	v_fma_f16 v50, v67, v58, -v62
	v_mul_f16_e32 v45, v44, v43
	v_mul_f16_e32 v43, v51, v43
	;; [unrolled: 1-line block ×8, first 2 shown]
	v_fma_f16 v45, v51, v71, -v45
	v_fmac_f16_e32 v43, v44, v71
	v_fma_f16 v44, v64, v3, -v52
	v_fmac_f16_e32 v41, v56, v3
	;; [unrolled: 2-line block ×4, first 2 shown]
	s_cbranch_vccnz .LBB0_32
; %bb.31:
	v_mad_u64_u32 v[3:4], null, s10, v18, 0
	v_mad_u64_u32 v[50:51], null, s8, v14, 0
	;; [unrolled: 1-line block ×3, first 2 shown]
	s_lshl_b64 s[4:5], s[2:3], 2
	v_perm_b32 v60, v46, v48, 0x5040100
	v_mad_u64_u32 v[54:55], null, s11, v18, v[4:5]
	v_mad_u64_u32 v[55:56], null, s8, v17, 0
	;; [unrolled: 1-line block ×3, first 2 shown]
	s_add_u32 s1, s14, s4
	s_addc_u32 s4, s15, s5
	v_mov_b32_e32 v4, v54
	v_perm_b32 v63, v5, v8, 0x5040100
	v_mov_b32_e32 v54, v56
	v_mov_b32_e32 v51, v57
	v_lshlrev_b64 v[3:4], 2, v[3:4]
	v_mad_u64_u32 v[56:57], null, s9, v16, v[53:54]
	v_lshlrev_b64 v[50:51], 2, v[50:51]
	v_mad_u64_u32 v[57:58], null, s9, v17, v[54:55]
	v_add_co_u32 v3, vcc_lo, s1, v3
	v_add_co_ci_u32_e32 v4, vcc_lo, s4, v4, vcc_lo
	v_mov_b32_e32 v53, v56
	v_add_co_u32 v50, vcc_lo, v3, v50
	v_add_co_ci_u32_e32 v51, vcc_lo, v4, v51, vcc_lo
	v_lshlrev_b64 v[52:53], 2, v[52:53]
	v_mad_u64_u32 v[58:59], null, s8, v15, 0
	v_mov_b32_e32 v56, v57
	global_store_dword v[50:51], v60, off
	v_and_b32_e32 v57, 0xffff, v29
	v_add_co_u32 v50, vcc_lo, v3, v52
	v_add_co_ci_u32_e32 v51, vcc_lo, v4, v53, vcc_lo
	v_lshlrev_b64 v[53:54], 2, v[55:56]
	v_mov_b32_e32 v52, v59
	v_mad_u32_u24 v61, 0x78, v57, v19
	v_perm_b32 v60, v10, v12, 0x5040100
	s_and_b32 s4, s0, exec_lo
	v_mad_u64_u32 v[55:56], null, s9, v15, v[52:53]
	v_add_co_u32 v52, vcc_lo, v3, v53
	v_mad_u64_u32 v[56:57], null, s8, v61, 0
	v_add_co_ci_u32_e32 v53, vcc_lo, v4, v54, vcc_lo
	v_mov_b32_e32 v59, v55
	v_add_nc_u32_e32 v55, 40, v61
	v_perm_b32 v54, v47, v49, 0x5040100
	global_store_dword v[50:51], v60, off
	global_store_dword v[52:53], v54, off
	v_mad_u64_u32 v[53:54], null, s8, v55, 0
	v_lshlrev_b64 v[50:51], 2, v[58:59]
	v_mov_b32_e32 v52, v57
	v_add_nc_u32_e32 v62, 0x50, v61
	v_add_nc_u32_e32 v64, 0x78, v61
	v_mad_u64_u32 v[57:58], null, s9, v61, v[52:53]
	v_add_co_u32 v50, vcc_lo, v3, v50
	v_mad_u64_u32 v[58:59], null, s8, v62, 0
	v_add_co_ci_u32_e32 v51, vcc_lo, v4, v51, vcc_lo
	v_mov_b32_e32 v52, v54
	v_mad_u64_u32 v[60:61], null, s8, v64, 0
	global_store_dword v[50:51], v63, off
	v_mov_b32_e32 v50, v59
	v_mad_u64_u32 v[54:55], null, s9, v55, v[52:53]
	v_lshlrev_b64 v[51:52], 2, v[56:57]
	v_mad_u64_u32 v[55:56], null, s9, v62, v[50:51]
	v_mov_b32_e32 v50, v61
	v_add_co_u32 v51, vcc_lo, v3, v51
	v_lshlrev_b64 v[53:54], 2, v[53:54]
	v_add_co_ci_u32_e32 v52, vcc_lo, v4, v52, vcc_lo
	v_mad_u64_u32 v[56:57], null, s9, v64, v[50:51]
	v_perm_b32 v61, v43, v45, 0x5040100
	v_mov_b32_e32 v59, v55
	v_add_co_u32 v53, vcc_lo, v3, v53
	v_add_co_ci_u32_e32 v54, vcc_lo, v4, v54, vcc_lo
	v_perm_b32 v55, v41, v44, 0x5040100
	global_store_dword v[51:52], v61, off
	v_mov_b32_e32 v61, v56
	v_lshlrev_b64 v[50:51], 2, v[58:59]
	global_store_dword v[53:54], v55, off
	v_perm_b32 v54, v11, v42, 0x5040100
	v_lshlrev_b64 v[52:53], 2, v[60:61]
	v_perm_b32 v55, v9, v13, 0x5040100
	v_add_co_u32 v50, vcc_lo, v3, v50
	v_add_co_ci_u32_e32 v51, vcc_lo, v4, v51, vcc_lo
	v_add_co_u32 v52, vcc_lo, v3, v52
	v_add_co_ci_u32_e32 v53, vcc_lo, v4, v53, vcc_lo
	global_store_dword v[50:51], v54, off
	global_store_dword v[52:53], v55, off
	s_cbranch_execz .LBB0_33
	s_branch .LBB0_36
.LBB0_32:
                                        ; implicit-def: $vgpr3_vgpr4
.LBB0_33:
	s_mov_b32 s1, exec_lo
                                        ; implicit-def: $vgpr3_vgpr4
	v_cmpx_gt_u64_e64 s[24:25], v[6:7]
	s_cbranch_execz .LBB0_35
; %bb.34:
	v_mad_u64_u32 v[3:4], null, s10, v18, 0
	v_mad_u64_u32 v[6:7], null, s8, v14, 0
	;; [unrolled: 1-line block ×3, first 2 shown]
	s_lshl_b64 s[2:3], s[2:3], 2
	v_perm_b32 v48, v46, v48, 0x5040100
	v_mad_u64_u32 v[52:53], null, s11, v18, v[4:5]
	v_mad_u64_u32 v[55:56], null, s9, v14, v[7:8]
	;; [unrolled: 1-line block ×3, first 2 shown]
	v_mov_b32_e32 v18, v51
	s_add_u32 s2, s14, s2
	v_mov_b32_e32 v4, v52
	s_addc_u32 s3, s15, s3
	v_mov_b32_e32 v7, v55
	v_mad_u64_u32 v[51:52], null, s9, v16, v[18:19]
	v_lshlrev_b64 v[3:4], 2, v[3:4]
	v_mov_b32_e32 v46, v54
	v_lshlrev_b64 v[6:7], 2, v[6:7]
	v_and_b32_e32 v29, 0xffff, v29
	v_perm_b32 v10, v10, v12, 0x5040100
	v_perm_b32 v8, v5, v8, 0x5040100
	v_add_co_u32 v3, vcc_lo, s2, v3
	v_mad_u64_u32 v[16:17], null, s9, v17, v[46:47]
	v_add_co_ci_u32_e32 v4, vcc_lo, s3, v4, vcc_lo
	v_add_co_u32 v6, vcc_lo, v3, v6
	v_lshlrev_b64 v[17:18], 2, v[50:51]
	v_add_co_ci_u32_e32 v7, vcc_lo, v4, v7, vcc_lo
	v_mad_u64_u32 v[50:51], null, s8, v15, 0
	v_mov_b32_e32 v54, v16
	global_store_dword v[6:7], v48, off
	v_add_co_u32 v6, vcc_lo, v3, v17
	v_add_co_ci_u32_e32 v7, vcc_lo, v4, v18, vcc_lo
	v_lshlrev_b64 v[17:18], 2, v[53:54]
	v_mov_b32_e32 v16, v51
	v_mad_u32_u24 v12, 0x78, v29, v19
	v_perm_b32 v29, v47, v49, 0x5040100
	v_perm_b32 v9, v9, v13, 0x5040100
	s_andn2_b32 s2, s4, exec_lo
	v_mad_u64_u32 v[15:16], null, s9, v15, v[16:17]
	v_add_co_u32 v16, vcc_lo, v3, v17
	v_add_co_ci_u32_e32 v17, vcc_lo, v4, v18, vcc_lo
	v_mad_u64_u32 v[18:19], null, s8, v12, 0
	v_mov_b32_e32 v51, v15
	global_store_dword v[6:7], v10, off
	global_store_dword v[16:17], v29, off
	v_add_nc_u32_e32 v17, 40, v12
	v_add_nc_u32_e32 v29, 0x50, v12
	s_and_b32 s0, s0, exec_lo
	v_lshlrev_b64 v[6:7], 2, v[50:51]
	v_mov_b32_e32 v10, v19
	v_mad_u64_u32 v[15:16], null, s8, v17, 0
	s_or_b32 s4, s2, s0
	v_mad_u64_u32 v[46:47], null, s9, v12, v[10:11]
	v_add_co_u32 v6, vcc_lo, v3, v6
	v_mad_u64_u32 v[47:48], null, s8, v29, 0
	v_add_nc_u32_e32 v10, 0x78, v12
	v_add_co_ci_u32_e32 v7, vcc_lo, v4, v7, vcc_lo
	v_mov_b32_e32 v5, v16
	v_mov_b32_e32 v19, v46
	v_mad_u64_u32 v[49:50], null, s8, v10, 0
	global_store_dword v[6:7], v8, off
	v_mad_u64_u32 v[16:17], null, s9, v17, v[5:6]
	v_lshlrev_b64 v[6:7], 2, v[18:19]
	v_mov_b32_e32 v5, v48
	v_perm_b32 v8, v43, v45, 0x5040100
	v_mad_u64_u32 v[17:18], null, s9, v29, v[5:6]
	v_mov_b32_e32 v5, v50
	v_add_co_u32 v6, vcc_lo, v3, v6
	v_add_co_ci_u32_e32 v7, vcc_lo, v4, v7, vcc_lo
	v_lshlrev_b64 v[15:16], 2, v[15:16]
	v_mad_u64_u32 v[18:19], null, s9, v10, v[5:6]
	v_mov_b32_e32 v48, v17
	global_store_dword v[6:7], v8, off
	v_perm_b32 v10, v41, v44, 0x5040100
	v_add_co_u32 v15, vcc_lo, v3, v15
	v_lshlrev_b64 v[5:6], 2, v[47:48]
	v_mov_b32_e32 v50, v18
	v_add_co_ci_u32_e32 v16, vcc_lo, v4, v16, vcc_lo
	v_lshlrev_b64 v[7:8], 2, v[49:50]
	v_add_co_u32 v5, vcc_lo, v3, v5
	v_add_co_ci_u32_e32 v6, vcc_lo, v4, v6, vcc_lo
	global_store_dword v[15:16], v10, off
	v_add_co_u32 v7, vcc_lo, v3, v7
	v_perm_b32 v10, v11, v42, 0x5040100
	v_add_co_ci_u32_e32 v8, vcc_lo, v4, v8, vcc_lo
	global_store_dword v[5:6], v10, off
	global_store_dword v[7:8], v9, off
.LBB0_35:
	s_or_b32 exec_lo, exec_lo, s1
.LBB0_36:
	s_and_saveexec_b32 s0, s4
	s_cbranch_execnz .LBB0_38
; %bb.37:
	s_endpgm
.LBB0_38:
	v_lshrrev_b32_e32 v7, 16, v22
	s_waitcnt vmcnt(12)
	v_mul_f16_sdwa v5, v26, v0 dst_sel:DWORD dst_unused:UNUSED_PAD src0_sel:DWORD src1_sel:WORD_1
	v_mul_f16_sdwa v6, v25, v0 dst_sel:DWORD dst_unused:UNUSED_PAD src0_sel:DWORD src1_sel:WORD_1
	;; [unrolled: 1-line block ×6, first 2 shown]
	v_fma_f16 v5, v25, v0, -v5
	v_fmac_f16_e32 v8, v7, v1
	v_fma_f16 v7, v20, v2, -v9
	v_fmac_f16_e32 v6, v26, v0
	v_fmac_f16_e32 v10, v21, v2
	v_fma_f16 v0, v22, v1, -v11
	s_waitcnt vmcnt(11)
	v_lshrrev_b32_e32 v9, 16, v40
	v_sub_f16_e32 v2, v5, v7
	v_sub_f16_e32 v1, v24, v8
	;; [unrolled: 1-line block ×4, first 2 shown]
	s_waitcnt vmcnt(10)
	v_mul_f16_sdwa v12, v9, v39 dst_sel:DWORD dst_unused:UNUSED_PAD src0_sel:DWORD src1_sel:WORD_1
	v_mul_f16_sdwa v11, v40, v39 dst_sel:DWORD dst_unused:UNUSED_PAD src0_sel:DWORD src1_sel:WORD_1
	s_waitcnt vmcnt(8)
	v_lshrrev_b32_e32 v13, 16, v38
	v_fma_f16 v6, v6, 2.0, -v7
	v_sub_f16_e32 v15, v0, v7
	v_fma_f16 v7, v40, v39, -v12
	v_fma_f16 v8, v24, 2.0, -v1
	v_fma_f16 v5, v5, 2.0, -v2
	;; [unrolled: 1-line block ×3, first 2 shown]
	v_add_f16_e32 v16, v1, v2
	s_waitcnt vmcnt(7)
	v_mul_f16_sdwa v2, v13, v37 dst_sel:DWORD dst_unused:UNUSED_PAD src0_sel:DWORD src1_sel:WORD_1
	v_fmac_f16_e32 v11, v9, v39
	v_mul_f16_sdwa v9, v7, v35 dst_sel:DWORD dst_unused:UNUSED_PAD src0_sel:DWORD src1_sel:WORD_1
	v_sub_f16_e32 v6, v8, v6
	v_sub_f16_e32 v5, v10, v5
	v_mul_f16_sdwa v12, v38, v37 dst_sel:DWORD dst_unused:UNUSED_PAD src0_sel:DWORD src1_sel:WORD_1
	v_fma_f16 v2, v38, v37, -v2
	v_mul_f16_sdwa v17, v11, v35 dst_sel:DWORD dst_unused:UNUSED_PAD src0_sel:DWORD src1_sel:WORD_1
	v_fmac_f16_e32 v9, v35, v11
	s_waitcnt vmcnt(5)
	v_lshrrev_b32_e32 v11, 16, v34
	v_fma_f16 v8, v8, 2.0, -v6
	v_fma_f16 v10, v10, 2.0, -v5
	v_fmac_f16_e32 v12, v13, v37
	s_waitcnt vmcnt(4)
	v_mul_f16_sdwa v13, v2, v36 dst_sel:DWORD dst_unused:UNUSED_PAD src0_sel:DWORD src1_sel:WORD_1
	v_mul_f16_sdwa v18, v11, v33 dst_sel:DWORD dst_unused:UNUSED_PAD src0_sel:DWORD src1_sel:WORD_1
	v_fma_f16 v7, v35, v7, -v17
	v_mul_f16_e32 v17, v8, v9
	v_mul_f16_sdwa v19, v12, v36 dst_sel:DWORD dst_unused:UNUSED_PAD src0_sel:DWORD src1_sel:WORD_1
	v_fmac_f16_e32 v13, v36, v12
	v_mul_f16_e32 v20, v10, v9
	v_mul_f16_sdwa v9, v34, v33 dst_sel:DWORD dst_unused:UNUSED_PAD src0_sel:DWORD src1_sel:WORD_1
	v_fma_f16 v12, v34, v33, -v18
	v_fma_f16 v17, v10, v7, -v17
	v_fma_f16 v1, v1, 2.0, -v16
	v_fmac_f16_e32 v20, v8, v7
	v_fmac_f16_e32 v9, v11, v33
	s_waitcnt vmcnt(0)
	v_mul_f16_sdwa v10, v12, v32 dst_sel:DWORD dst_unused:UNUSED_PAD src0_sel:DWORD src1_sel:WORD_1
	v_fma_f16 v0, v0, 2.0, -v15
	v_fma_f16 v2, v36, v2, -v19
	v_mul_f16_e32 v18, v1, v13
	v_mul_f16_sdwa v8, v9, v32 dst_sel:DWORD dst_unused:UNUSED_PAD src0_sel:DWORD src1_sel:WORD_1
	v_fmac_f16_e32 v10, v32, v9
	v_lshrrev_b32_e32 v7, 16, v31
	v_mul_f16_sdwa v9, v31, v30 dst_sel:DWORD dst_unused:UNUSED_PAD src0_sel:DWORD src1_sel:WORD_1
	v_fma_f16 v18, v0, v2, -v18
	v_fma_f16 v8, v32, v12, -v8
	v_mul_f16_e32 v11, v6, v10
	v_mul_f16_e32 v19, v0, v13
	v_mul_f16_sdwa v0, v7, v30 dst_sel:DWORD dst_unused:UNUSED_PAD src0_sel:DWORD src1_sel:WORD_1
	v_fmac_f16_e32 v9, v7, v30
	v_mul_f16_e32 v21, v5, v10
	v_fma_f16 v22, v5, v8, -v11
	v_add_nc_u32_e32 v11, 0x48, v14
	v_fma_f16 v7, v31, v30, -v0
	v_fmac_f16_e32 v19, v1, v2
	v_mul_f16_sdwa v2, v9, v28 dst_sel:DWORD dst_unused:UNUSED_PAD src0_sel:DWORD src1_sel:WORD_1
	v_or_b32_e32 v13, 0x70, v14
	v_mad_u64_u32 v[0:1], null, s8, v27, 0
	v_fmac_f16_e32 v21, v6, v8
	v_mad_u64_u32 v[5:6], null, s8, v11, 0
	v_mul_f16_sdwa v10, v7, v28 dst_sel:DWORD dst_unused:UNUSED_PAD src0_sel:DWORD src1_sel:WORD_1
	v_fma_f16 v23, v28, v7, -v2
	v_mad_u64_u32 v[7:8], null, s8, v13, 0
	v_add_nc_u32_e32 v14, 0x98, v14
	v_fmac_f16_e32 v10, v28, v9
	v_mad_u64_u32 v[1:2], null, s9, v27, v[1:2]
	v_mov_b32_e32 v2, v6
	v_mul_f16_e32 v24, v16, v10
	v_mul_f16_e32 v25, v15, v10
	v_mov_b32_e32 v6, v8
	v_mad_u64_u32 v[9:10], null, s8, v14, 0
	v_mad_u64_u32 v[11:12], null, s9, v11, v[2:3]
	;; [unrolled: 1-line block ×3, first 2 shown]
	v_lshlrev_b64 v[0:1], 2, v[0:1]
	v_fma_f16 v13, v15, v23, -v24
	v_mov_b32_e32 v2, v10
	v_fmac_f16_e32 v25, v16, v23
	v_mov_b32_e32 v6, v11
	v_mov_b32_e32 v8, v12
	v_mad_u64_u32 v[10:11], null, s9, v14, v[2:3]
	v_lshlrev_b64 v[5:6], 2, v[5:6]
	v_add_co_u32 v0, vcc_lo, v3, v0
	v_lshlrev_b64 v[7:8], 2, v[7:8]
	v_add_co_ci_u32_e32 v1, vcc_lo, v4, v1, vcc_lo
	v_add_co_u32 v5, vcc_lo, v3, v5
	v_lshlrev_b64 v[9:10], 2, v[9:10]
	v_add_co_ci_u32_e32 v6, vcc_lo, v4, v6, vcc_lo
	v_add_co_u32 v7, vcc_lo, v3, v7
	v_pack_b32_f16 v11, v17, v20
	v_add_co_ci_u32_e32 v8, vcc_lo, v4, v8, vcc_lo
	v_pack_b32_f16 v12, v18, v19
	v_add_co_u32 v2, vcc_lo, v3, v9
	v_pack_b32_f16 v14, v22, v21
	v_add_co_ci_u32_e32 v3, vcc_lo, v4, v10, vcc_lo
	v_pack_b32_f16 v4, v13, v25
	global_store_dword v[0:1], v11, off
	global_store_dword v[5:6], v12, off
	;; [unrolled: 1-line block ×4, first 2 shown]
	s_endpgm
	.section	.rodata,"a",@progbits
	.p2align	6, 0x0
	.amdhsa_kernel fft_rtc_fwd_len160_factors_4_10_4_wgs_192_tpt_16_half_op_CI_CI_sbcc_twdbase8_3step_dirReg
		.amdhsa_group_segment_fixed_size 0
		.amdhsa_private_segment_fixed_size 0
		.amdhsa_kernarg_size 112
		.amdhsa_user_sgpr_count 6
		.amdhsa_user_sgpr_private_segment_buffer 1
		.amdhsa_user_sgpr_dispatch_ptr 0
		.amdhsa_user_sgpr_queue_ptr 0
		.amdhsa_user_sgpr_kernarg_segment_ptr 1
		.amdhsa_user_sgpr_dispatch_id 0
		.amdhsa_user_sgpr_flat_scratch_init 0
		.amdhsa_user_sgpr_private_segment_size 0
		.amdhsa_wavefront_size32 1
		.amdhsa_uses_dynamic_stack 0
		.amdhsa_system_sgpr_private_segment_wavefront_offset 0
		.amdhsa_system_sgpr_workgroup_id_x 1
		.amdhsa_system_sgpr_workgroup_id_y 0
		.amdhsa_system_sgpr_workgroup_id_z 0
		.amdhsa_system_sgpr_workgroup_info 0
		.amdhsa_system_vgpr_workitem_id 0
		.amdhsa_next_free_vgpr 84
		.amdhsa_next_free_sgpr 59
		.amdhsa_reserve_vcc 1
		.amdhsa_reserve_flat_scratch 0
		.amdhsa_float_round_mode_32 0
		.amdhsa_float_round_mode_16_64 0
		.amdhsa_float_denorm_mode_32 3
		.amdhsa_float_denorm_mode_16_64 3
		.amdhsa_dx10_clamp 1
		.amdhsa_ieee_mode 1
		.amdhsa_fp16_overflow 0
		.amdhsa_workgroup_processor_mode 1
		.amdhsa_memory_ordered 1
		.amdhsa_forward_progress 0
		.amdhsa_shared_vgpr_count 0
		.amdhsa_exception_fp_ieee_invalid_op 0
		.amdhsa_exception_fp_denorm_src 0
		.amdhsa_exception_fp_ieee_div_zero 0
		.amdhsa_exception_fp_ieee_overflow 0
		.amdhsa_exception_fp_ieee_underflow 0
		.amdhsa_exception_fp_ieee_inexact 0
		.amdhsa_exception_int_div_zero 0
	.end_amdhsa_kernel
	.text
.Lfunc_end0:
	.size	fft_rtc_fwd_len160_factors_4_10_4_wgs_192_tpt_16_half_op_CI_CI_sbcc_twdbase8_3step_dirReg, .Lfunc_end0-fft_rtc_fwd_len160_factors_4_10_4_wgs_192_tpt_16_half_op_CI_CI_sbcc_twdbase8_3step_dirReg
                                        ; -- End function
	.section	.AMDGPU.csdata,"",@progbits
; Kernel info:
; codeLenInByte = 9568
; NumSgprs: 61
; NumVgprs: 84
; ScratchSize: 0
; MemoryBound: 0
; FloatMode: 240
; IeeeMode: 1
; LDSByteSize: 0 bytes/workgroup (compile time only)
; SGPRBlocks: 7
; VGPRBlocks: 10
; NumSGPRsForWavesPerEU: 61
; NumVGPRsForWavesPerEU: 84
; Occupancy: 10
; WaveLimiterHint : 1
; COMPUTE_PGM_RSRC2:SCRATCH_EN: 0
; COMPUTE_PGM_RSRC2:USER_SGPR: 6
; COMPUTE_PGM_RSRC2:TRAP_HANDLER: 0
; COMPUTE_PGM_RSRC2:TGID_X_EN: 1
; COMPUTE_PGM_RSRC2:TGID_Y_EN: 0
; COMPUTE_PGM_RSRC2:TGID_Z_EN: 0
; COMPUTE_PGM_RSRC2:TIDIG_COMP_CNT: 0
	.text
	.p2alignl 6, 3214868480
	.fill 48, 4, 3214868480
	.type	__hip_cuid_309d536b41a136e7,@object ; @__hip_cuid_309d536b41a136e7
	.section	.bss,"aw",@nobits
	.globl	__hip_cuid_309d536b41a136e7
__hip_cuid_309d536b41a136e7:
	.byte	0                               ; 0x0
	.size	__hip_cuid_309d536b41a136e7, 1

	.ident	"AMD clang version 19.0.0git (https://github.com/RadeonOpenCompute/llvm-project roc-6.4.0 25133 c7fe45cf4b819c5991fe208aaa96edf142730f1d)"
	.section	".note.GNU-stack","",@progbits
	.addrsig
	.addrsig_sym __hip_cuid_309d536b41a136e7
	.amdgpu_metadata
---
amdhsa.kernels:
  - .args:
      - .actual_access:  read_only
        .address_space:  global
        .offset:         0
        .size:           8
        .value_kind:     global_buffer
      - .address_space:  global
        .offset:         8
        .size:           8
        .value_kind:     global_buffer
      - .offset:         16
        .size:           8
        .value_kind:     by_value
      - .actual_access:  read_only
        .address_space:  global
        .offset:         24
        .size:           8
        .value_kind:     global_buffer
      - .actual_access:  read_only
        .address_space:  global
        .offset:         32
        .size:           8
        .value_kind:     global_buffer
      - .actual_access:  read_only
        .address_space:  global
        .offset:         40
        .size:           8
        .value_kind:     global_buffer
      - .offset:         48
        .size:           8
        .value_kind:     by_value
      - .actual_access:  read_only
        .address_space:  global
        .offset:         56
        .size:           8
        .value_kind:     global_buffer
      - .actual_access:  read_only
        .address_space:  global
        .offset:         64
        .size:           8
        .value_kind:     global_buffer
      - .offset:         72
        .size:           4
        .value_kind:     by_value
      - .actual_access:  read_only
        .address_space:  global
        .offset:         80
        .size:           8
        .value_kind:     global_buffer
      - .actual_access:  read_only
        .address_space:  global
        .offset:         88
        .size:           8
        .value_kind:     global_buffer
      - .actual_access:  read_only
        .address_space:  global
        .offset:         96
        .size:           8
        .value_kind:     global_buffer
      - .actual_access:  write_only
        .address_space:  global
        .offset:         104
        .size:           8
        .value_kind:     global_buffer
    .group_segment_fixed_size: 0
    .kernarg_segment_align: 8
    .kernarg_segment_size: 112
    .language:       OpenCL C
    .language_version:
      - 2
      - 0
    .max_flat_workgroup_size: 192
    .name:           fft_rtc_fwd_len160_factors_4_10_4_wgs_192_tpt_16_half_op_CI_CI_sbcc_twdbase8_3step_dirReg
    .private_segment_fixed_size: 0
    .sgpr_count:     61
    .sgpr_spill_count: 0
    .symbol:         fft_rtc_fwd_len160_factors_4_10_4_wgs_192_tpt_16_half_op_CI_CI_sbcc_twdbase8_3step_dirReg.kd
    .uniform_work_group_size: 1
    .uses_dynamic_stack: false
    .vgpr_count:     84
    .vgpr_spill_count: 0
    .wavefront_size: 32
    .workgroup_processor_mode: 1
amdhsa.target:   amdgcn-amd-amdhsa--gfx1030
amdhsa.version:
  - 1
  - 2
...

	.end_amdgpu_metadata
